;; amdgpu-corpus repo=ROCm/rocFFT kind=compiled arch=gfx1201 opt=O3
	.text
	.amdgcn_target "amdgcn-amd-amdhsa--gfx1201"
	.amdhsa_code_object_version 6
	.protected	fft_rtc_back_len1512_factors_2_2_2_3_3_3_7_wgs_63_tpt_63_halfLds_half_op_CI_CI_unitstride_sbrr_dirReg ; -- Begin function fft_rtc_back_len1512_factors_2_2_2_3_3_3_7_wgs_63_tpt_63_halfLds_half_op_CI_CI_unitstride_sbrr_dirReg
	.globl	fft_rtc_back_len1512_factors_2_2_2_3_3_3_7_wgs_63_tpt_63_halfLds_half_op_CI_CI_unitstride_sbrr_dirReg
	.p2align	8
	.type	fft_rtc_back_len1512_factors_2_2_2_3_3_3_7_wgs_63_tpt_63_halfLds_half_op_CI_CI_unitstride_sbrr_dirReg,@function
fft_rtc_back_len1512_factors_2_2_2_3_3_3_7_wgs_63_tpt_63_halfLds_half_op_CI_CI_unitstride_sbrr_dirReg: ; @fft_rtc_back_len1512_factors_2_2_2_3_3_3_7_wgs_63_tpt_63_halfLds_half_op_CI_CI_unitstride_sbrr_dirReg
; %bb.0:
	s_clause 0x2
	s_load_b128 s[4:7], s[0:1], 0x0
	s_load_b128 s[8:11], s[0:1], 0x58
	;; [unrolled: 1-line block ×3, first 2 shown]
	v_mul_u32_u24_e32 v1, 0x411, v0
	v_mov_b32_e32 v7, 0
	v_mov_b32_e32 v5, 0
	;; [unrolled: 1-line block ×3, first 2 shown]
	s_delay_alu instid0(VALU_DEP_4) | instskip(NEXT) | instid1(VALU_DEP_1)
	v_lshrrev_b32_e32 v1, 16, v1
	v_dual_mov_b32 v10, v7 :: v_dual_add_nc_u32 v9, ttmp9, v1
	s_wait_kmcnt 0x0
	v_cmp_lt_u64_e64 s2, s[6:7], 2
	s_delay_alu instid0(VALU_DEP_1)
	s_and_b32 vcc_lo, exec_lo, s2
	s_cbranch_vccnz .LBB0_8
; %bb.1:
	s_load_b64 s[2:3], s[0:1], 0x10
	v_mov_b32_e32 v5, 0
	v_mov_b32_e32 v6, 0
	s_delay_alu instid0(VALU_DEP_2)
	v_mov_b32_e32 v1, v5
	s_add_nc_u64 s[16:17], s[14:15], 8
	s_add_nc_u64 s[18:19], s[12:13], 8
	s_mov_b64 s[20:21], 1
	v_mov_b32_e32 v2, v6
	s_wait_kmcnt 0x0
	s_add_nc_u64 s[22:23], s[2:3], 8
	s_mov_b32 s3, 0
.LBB0_2:                                ; =>This Inner Loop Header: Depth=1
	s_load_b64 s[24:25], s[22:23], 0x0
                                        ; implicit-def: $vgpr3_vgpr4
	s_mov_b32 s2, exec_lo
	s_wait_kmcnt 0x0
	v_or_b32_e32 v8, s25, v10
	s_delay_alu instid0(VALU_DEP_1)
	v_cmpx_ne_u64_e32 0, v[7:8]
	s_wait_alu 0xfffe
	s_xor_b32 s26, exec_lo, s2
	s_cbranch_execz .LBB0_4
; %bb.3:                                ;   in Loop: Header=BB0_2 Depth=1
	s_cvt_f32_u32 s2, s24
	s_cvt_f32_u32 s27, s25
	s_sub_nc_u64 s[30:31], 0, s[24:25]
	s_wait_alu 0xfffe
	s_delay_alu instid0(SALU_CYCLE_1) | instskip(SKIP_1) | instid1(SALU_CYCLE_2)
	s_fmamk_f32 s2, s27, 0x4f800000, s2
	s_wait_alu 0xfffe
	v_s_rcp_f32 s2, s2
	s_delay_alu instid0(TRANS32_DEP_1) | instskip(SKIP_1) | instid1(SALU_CYCLE_2)
	s_mul_f32 s2, s2, 0x5f7ffffc
	s_wait_alu 0xfffe
	s_mul_f32 s27, s2, 0x2f800000
	s_wait_alu 0xfffe
	s_delay_alu instid0(SALU_CYCLE_2) | instskip(SKIP_1) | instid1(SALU_CYCLE_2)
	s_trunc_f32 s27, s27
	s_wait_alu 0xfffe
	s_fmamk_f32 s2, s27, 0xcf800000, s2
	s_cvt_u32_f32 s29, s27
	s_wait_alu 0xfffe
	s_delay_alu instid0(SALU_CYCLE_1) | instskip(SKIP_1) | instid1(SALU_CYCLE_2)
	s_cvt_u32_f32 s28, s2
	s_wait_alu 0xfffe
	s_mul_u64 s[34:35], s[30:31], s[28:29]
	s_wait_alu 0xfffe
	s_mul_hi_u32 s37, s28, s35
	s_mul_i32 s36, s28, s35
	s_mul_hi_u32 s2, s28, s34
	s_mul_i32 s33, s29, s34
	s_wait_alu 0xfffe
	s_add_nc_u64 s[36:37], s[2:3], s[36:37]
	s_mul_hi_u32 s27, s29, s34
	s_mul_hi_u32 s38, s29, s35
	s_add_co_u32 s2, s36, s33
	s_wait_alu 0xfffe
	s_add_co_ci_u32 s2, s37, s27
	s_mul_i32 s34, s29, s35
	s_add_co_ci_u32 s35, s38, 0
	s_wait_alu 0xfffe
	s_add_nc_u64 s[34:35], s[2:3], s[34:35]
	s_wait_alu 0xfffe
	v_add_co_u32 v3, s2, s28, s34
	s_delay_alu instid0(VALU_DEP_1) | instskip(SKIP_1) | instid1(VALU_DEP_1)
	s_cmp_lg_u32 s2, 0
	s_add_co_ci_u32 s29, s29, s35
	v_readfirstlane_b32 s28, v3
	s_wait_alu 0xfffe
	s_delay_alu instid0(VALU_DEP_1)
	s_mul_u64 s[30:31], s[30:31], s[28:29]
	s_wait_alu 0xfffe
	s_mul_hi_u32 s35, s28, s31
	s_mul_i32 s34, s28, s31
	s_mul_hi_u32 s2, s28, s30
	s_mul_i32 s33, s29, s30
	s_wait_alu 0xfffe
	s_add_nc_u64 s[34:35], s[2:3], s[34:35]
	s_mul_hi_u32 s27, s29, s30
	s_mul_hi_u32 s28, s29, s31
	s_wait_alu 0xfffe
	s_add_co_u32 s2, s34, s33
	s_add_co_ci_u32 s2, s35, s27
	s_mul_i32 s30, s29, s31
	s_add_co_ci_u32 s31, s28, 0
	s_wait_alu 0xfffe
	s_add_nc_u64 s[30:31], s[2:3], s[30:31]
	s_wait_alu 0xfffe
	v_add_co_u32 v8, s2, v3, s30
	s_delay_alu instid0(VALU_DEP_1) | instskip(SKIP_1) | instid1(VALU_DEP_1)
	s_cmp_lg_u32 s2, 0
	s_add_co_ci_u32 s2, s29, s31
	v_mul_hi_u32 v15, v9, v8
	s_wait_alu 0xfffe
	v_mad_co_u64_u32 v[3:4], null, v9, s2, 0
	v_mad_co_u64_u32 v[11:12], null, v10, v8, 0
	;; [unrolled: 1-line block ×3, first 2 shown]
	s_delay_alu instid0(VALU_DEP_3) | instskip(SKIP_1) | instid1(VALU_DEP_4)
	v_add_co_u32 v3, vcc_lo, v15, v3
	s_wait_alu 0xfffd
	v_add_co_ci_u32_e32 v4, vcc_lo, 0, v4, vcc_lo
	s_delay_alu instid0(VALU_DEP_2) | instskip(SKIP_1) | instid1(VALU_DEP_2)
	v_add_co_u32 v3, vcc_lo, v3, v11
	s_wait_alu 0xfffd
	v_add_co_ci_u32_e32 v3, vcc_lo, v4, v12, vcc_lo
	s_wait_alu 0xfffd
	v_add_co_ci_u32_e32 v4, vcc_lo, 0, v14, vcc_lo
	s_delay_alu instid0(VALU_DEP_2) | instskip(SKIP_1) | instid1(VALU_DEP_2)
	v_add_co_u32 v8, vcc_lo, v3, v13
	s_wait_alu 0xfffd
	v_add_co_ci_u32_e32 v11, vcc_lo, 0, v4, vcc_lo
	s_delay_alu instid0(VALU_DEP_2) | instskip(SKIP_1) | instid1(VALU_DEP_3)
	v_mul_lo_u32 v12, s25, v8
	v_mad_co_u64_u32 v[3:4], null, s24, v8, 0
	v_mul_lo_u32 v13, s24, v11
	s_delay_alu instid0(VALU_DEP_2) | instskip(NEXT) | instid1(VALU_DEP_2)
	v_sub_co_u32 v3, vcc_lo, v9, v3
	v_add3_u32 v4, v4, v13, v12
	s_delay_alu instid0(VALU_DEP_1) | instskip(SKIP_1) | instid1(VALU_DEP_1)
	v_sub_nc_u32_e32 v12, v10, v4
	s_wait_alu 0xfffd
	v_subrev_co_ci_u32_e64 v12, s2, s25, v12, vcc_lo
	v_add_co_u32 v13, s2, v8, 2
	s_wait_alu 0xf1ff
	v_add_co_ci_u32_e64 v14, s2, 0, v11, s2
	v_sub_co_u32 v15, s2, v3, s24
	v_sub_co_ci_u32_e32 v4, vcc_lo, v10, v4, vcc_lo
	s_wait_alu 0xf1ff
	v_subrev_co_ci_u32_e64 v12, s2, 0, v12, s2
	s_delay_alu instid0(VALU_DEP_3) | instskip(NEXT) | instid1(VALU_DEP_3)
	v_cmp_le_u32_e32 vcc_lo, s24, v15
	v_cmp_eq_u32_e64 s2, s25, v4
	s_wait_alu 0xfffd
	v_cndmask_b32_e64 v15, 0, -1, vcc_lo
	v_cmp_le_u32_e32 vcc_lo, s25, v12
	s_wait_alu 0xfffd
	v_cndmask_b32_e64 v16, 0, -1, vcc_lo
	v_cmp_le_u32_e32 vcc_lo, s24, v3
	;; [unrolled: 3-line block ×3, first 2 shown]
	s_wait_alu 0xfffd
	v_cndmask_b32_e64 v17, 0, -1, vcc_lo
	v_cmp_eq_u32_e32 vcc_lo, s25, v12
	s_wait_alu 0xf1ff
	s_delay_alu instid0(VALU_DEP_2)
	v_cndmask_b32_e64 v3, v17, v3, s2
	s_wait_alu 0xfffd
	v_cndmask_b32_e32 v12, v16, v15, vcc_lo
	v_add_co_u32 v15, vcc_lo, v8, 1
	s_wait_alu 0xfffd
	v_add_co_ci_u32_e32 v16, vcc_lo, 0, v11, vcc_lo
	s_delay_alu instid0(VALU_DEP_3) | instskip(SKIP_1) | instid1(VALU_DEP_2)
	v_cmp_ne_u32_e32 vcc_lo, 0, v12
	s_wait_alu 0xfffd
	v_cndmask_b32_e32 v4, v16, v14, vcc_lo
	v_cndmask_b32_e32 v12, v15, v13, vcc_lo
	v_cmp_ne_u32_e32 vcc_lo, 0, v3
	s_wait_alu 0xfffd
	s_delay_alu instid0(VALU_DEP_3) | instskip(NEXT) | instid1(VALU_DEP_3)
	v_cndmask_b32_e32 v4, v11, v4, vcc_lo
	v_cndmask_b32_e32 v3, v8, v12, vcc_lo
.LBB0_4:                                ;   in Loop: Header=BB0_2 Depth=1
	s_wait_alu 0xfffe
	s_and_not1_saveexec_b32 s2, s26
	s_cbranch_execz .LBB0_6
; %bb.5:                                ;   in Loop: Header=BB0_2 Depth=1
	v_cvt_f32_u32_e32 v3, s24
	s_sub_co_i32 s26, 0, s24
	s_delay_alu instid0(VALU_DEP_1) | instskip(NEXT) | instid1(TRANS32_DEP_1)
	v_rcp_iflag_f32_e32 v3, v3
	v_mul_f32_e32 v3, 0x4f7ffffe, v3
	s_delay_alu instid0(VALU_DEP_1) | instskip(SKIP_1) | instid1(VALU_DEP_1)
	v_cvt_u32_f32_e32 v3, v3
	s_wait_alu 0xfffe
	v_mul_lo_u32 v4, s26, v3
	s_delay_alu instid0(VALU_DEP_1) | instskip(NEXT) | instid1(VALU_DEP_1)
	v_mul_hi_u32 v4, v3, v4
	v_add_nc_u32_e32 v3, v3, v4
	s_delay_alu instid0(VALU_DEP_1) | instskip(NEXT) | instid1(VALU_DEP_1)
	v_mul_hi_u32 v3, v9, v3
	v_mul_lo_u32 v4, v3, s24
	v_add_nc_u32_e32 v8, 1, v3
	s_delay_alu instid0(VALU_DEP_2) | instskip(NEXT) | instid1(VALU_DEP_1)
	v_sub_nc_u32_e32 v4, v9, v4
	v_subrev_nc_u32_e32 v11, s24, v4
	v_cmp_le_u32_e32 vcc_lo, s24, v4
	s_wait_alu 0xfffd
	s_delay_alu instid0(VALU_DEP_2) | instskip(NEXT) | instid1(VALU_DEP_1)
	v_dual_cndmask_b32 v4, v4, v11 :: v_dual_cndmask_b32 v3, v3, v8
	v_cmp_le_u32_e32 vcc_lo, s24, v4
	s_delay_alu instid0(VALU_DEP_2) | instskip(SKIP_2) | instid1(VALU_DEP_2)
	v_add_nc_u32_e32 v8, 1, v3
	v_mov_b32_e32 v4, v7
	s_wait_alu 0xfffd
	v_cndmask_b32_e32 v3, v3, v8, vcc_lo
.LBB0_6:                                ;   in Loop: Header=BB0_2 Depth=1
	s_wait_alu 0xfffe
	s_or_b32 exec_lo, exec_lo, s2
	v_mul_lo_u32 v8, v4, s24
	s_delay_alu instid0(VALU_DEP_2)
	v_mul_lo_u32 v13, v3, s25
	s_load_b64 s[26:27], s[18:19], 0x0
	v_mad_co_u64_u32 v[11:12], null, v3, s24, 0
	s_load_b64 s[24:25], s[16:17], 0x0
	s_add_nc_u64 s[20:21], s[20:21], 1
	s_add_nc_u64 s[16:17], s[16:17], 8
	s_wait_alu 0xfffe
	v_cmp_ge_u64_e64 s2, s[20:21], s[6:7]
	s_add_nc_u64 s[18:19], s[18:19], 8
	s_add_nc_u64 s[22:23], s[22:23], 8
	v_add3_u32 v8, v12, v13, v8
	v_sub_co_u32 v9, vcc_lo, v9, v11
	s_wait_alu 0xfffd
	s_delay_alu instid0(VALU_DEP_2) | instskip(SKIP_2) | instid1(VALU_DEP_1)
	v_sub_co_ci_u32_e32 v8, vcc_lo, v10, v8, vcc_lo
	s_and_b32 vcc_lo, exec_lo, s2
	s_wait_kmcnt 0x0
	v_mul_lo_u32 v10, s26, v8
	v_mul_lo_u32 v11, s27, v9
	v_mad_co_u64_u32 v[5:6], null, s26, v9, v[5:6]
	v_mul_lo_u32 v8, s24, v8
	v_mul_lo_u32 v12, s25, v9
	v_mad_co_u64_u32 v[1:2], null, s24, v9, v[1:2]
	s_delay_alu instid0(VALU_DEP_4) | instskip(NEXT) | instid1(VALU_DEP_2)
	v_add3_u32 v6, v11, v6, v10
	v_add3_u32 v2, v12, v2, v8
	s_wait_alu 0xfffe
	s_cbranch_vccnz .LBB0_9
; %bb.7:                                ;   in Loop: Header=BB0_2 Depth=1
	v_dual_mov_b32 v10, v4 :: v_dual_mov_b32 v9, v3
	s_branch .LBB0_2
.LBB0_8:
	v_dual_mov_b32 v1, v5 :: v_dual_mov_b32 v2, v6
	v_dual_mov_b32 v3, v9 :: v_dual_mov_b32 v4, v10
.LBB0_9:
	s_load_b64 s[0:1], s[0:1], 0x28
	v_mul_hi_u32 v44, 0x4104105, v0
	s_lshl_b64 s[6:7], s[6:7], 3
                                        ; implicit-def: $sgpr2
                                        ; implicit-def: $vgpr22
	s_wait_kmcnt 0x0
	v_cmp_gt_u64_e32 vcc_lo, s[0:1], v[3:4]
	v_cmp_le_u64_e64 s0, s[0:1], v[3:4]
	s_delay_alu instid0(VALU_DEP_1)
	s_and_saveexec_b32 s1, s0
	s_wait_alu 0xfffe
	s_xor_b32 s0, exec_lo, s1
; %bb.10:
	v_mul_u32_u24_e32 v5, 63, v44
	s_mov_b32 s2, 0
                                        ; implicit-def: $vgpr44
	s_delay_alu instid0(VALU_DEP_1)
	v_sub_nc_u32_e32 v22, v0, v5
                                        ; implicit-def: $vgpr0
                                        ; implicit-def: $vgpr5_vgpr6
; %bb.11:
	s_wait_alu 0xfffe
	s_or_saveexec_b32 s1, s0
	v_dual_mov_b32 v23, s2 :: v_dual_mov_b32 v34, s2
	v_dual_mov_b32 v33, s2 :: v_dual_mov_b32 v28, s2
	;; [unrolled: 1-line block ×4, first 2 shown]
	v_mov_b32_e32 v13, s2
	v_mov_b32_e32 v11, s2
	;; [unrolled: 1-line block ×4, first 2 shown]
	s_add_nc_u64 s[2:3], s[14:15], s[6:7]
                                        ; implicit-def: $vgpr43
                                        ; implicit-def: $vgpr21
                                        ; implicit-def: $vgpr42
                                        ; implicit-def: $vgpr25
                                        ; implicit-def: $vgpr41
                                        ; implicit-def: $vgpr26
                                        ; implicit-def: $vgpr40
                                        ; implicit-def: $vgpr19
                                        ; implicit-def: $vgpr39
                                        ; implicit-def: $vgpr20
                                        ; implicit-def: $vgpr38
                                        ; implicit-def: $vgpr17
                                        ; implicit-def: $vgpr37
                                        ; implicit-def: $vgpr18
                                        ; implicit-def: $vgpr36
                                        ; implicit-def: $vgpr15
                                        ; implicit-def: $vgpr35
                                        ; implicit-def: $vgpr16
                                        ; implicit-def: $vgpr32
                                        ; implicit-def: $vgpr14
                                        ; implicit-def: $vgpr29
                                        ; implicit-def: $vgpr10
                                        ; implicit-def: $vgpr30
                                        ; implicit-def: $vgpr12
	s_wait_alu 0xfffe
	s_xor_b32 exec_lo, exec_lo, s1
	s_cbranch_execz .LBB0_13
; %bb.12:
	s_add_nc_u64 s[6:7], s[12:13], s[6:7]
	v_lshlrev_b64_e32 v[5:6], 2, v[5:6]
	s_load_b64 s[6:7], s[6:7], 0x0
	s_wait_kmcnt 0x0
	v_mul_lo_u32 v9, s7, v3
	v_mul_lo_u32 v10, s6, v4
	v_mad_co_u64_u32 v[7:8], null, s6, v3, 0
	s_delay_alu instid0(VALU_DEP_1) | instskip(SKIP_1) | instid1(VALU_DEP_2)
	v_add3_u32 v8, v8, v10, v9
	v_mul_u32_u24_e32 v9, 63, v44
	v_lshlrev_b64_e32 v[7:8], 2, v[7:8]
	s_delay_alu instid0(VALU_DEP_2) | instskip(NEXT) | instid1(VALU_DEP_2)
	v_sub_nc_u32_e32 v22, v0, v9
	v_add_co_u32 v0, s0, s8, v7
	s_wait_alu 0xf1ff
	s_delay_alu instid0(VALU_DEP_3) | instskip(NEXT) | instid1(VALU_DEP_3)
	v_add_co_ci_u32_e64 v7, s0, s9, v8, s0
	v_lshlrev_b32_e32 v8, 2, v22
	s_delay_alu instid0(VALU_DEP_3) | instskip(SKIP_1) | instid1(VALU_DEP_3)
	v_add_co_u32 v0, s0, v0, v5
	s_wait_alu 0xf1ff
	v_add_co_ci_u32_e64 v6, s0, v7, v6, s0
	s_delay_alu instid0(VALU_DEP_2) | instskip(SKIP_1) | instid1(VALU_DEP_2)
	v_add_co_u32 v5, s0, v0, v8
	s_wait_alu 0xf1ff
	v_add_co_ci_u32_e64 v6, s0, 0, v6, s0
	s_clause 0x17
	global_load_b32 v21, v[5:6], off offset:3024
	global_load_b32 v25, v[5:6], off offset:3276
	global_load_b32 v26, v[5:6], off offset:3528
	global_load_b32 v19, v[5:6], off offset:3780
	global_load_b32 v20, v[5:6], off offset:4032
	global_load_b32 v17, v[5:6], off offset:4284
	global_load_b32 v18, v[5:6], off offset:4536
	global_load_b32 v15, v[5:6], off offset:4788
	global_load_b32 v16, v[5:6], off offset:5040
	global_load_b32 v14, v[5:6], off offset:5292
	global_load_b32 v10, v[5:6], off offset:5544
	global_load_b32 v12, v[5:6], off offset:5796
	global_load_b32 v23, v[5:6], off
	global_load_b32 v34, v[5:6], off offset:252
	global_load_b32 v33, v[5:6], off offset:504
	;; [unrolled: 1-line block ×11, first 2 shown]
	s_wait_loadcnt 0x17
	v_lshrrev_b32_e32 v43, 16, v21
	s_wait_loadcnt 0x16
	v_lshrrev_b32_e32 v42, 16, v25
	;; [unrolled: 2-line block ×12, first 2 shown]
.LBB0_13:
	s_or_b32 exec_lo, exec_lo, s1
	s_wait_loadcnt 0xb
	v_lshrrev_b32_e32 v0, 16, v23
	v_sub_f16_e32 v6, v23, v21
	s_wait_loadcnt 0xa
	v_lshrrev_b32_e32 v5, 16, v34
	v_sub_f16_e32 v21, v34, v25
	;; [unrolled: 3-line block ×3, first 2 shown]
	v_sub_f16_e32 v26, v33, v26
	v_sub_f16_e32 v42, v5, v42
	s_wait_loadcnt 0x8
	v_sub_f16_e32 v19, v31, v19
	v_sub_f16_e32 v41, v25, v41
	v_fma_f16 v44, v0, 2.0, -v43
	v_lshrrev_b32_e32 v0, 16, v31
	v_fma_f16 v45, v5, 2.0, -v42
	s_wait_loadcnt 0x7
	v_lshrrev_b32_e32 v5, 16, v28
	v_fma_f16 v46, v25, 2.0, -v41
	s_wait_loadcnt 0x6
	v_lshrrev_b32_e32 v25, 16, v27
	v_sub_f16_e32 v47, v0, v40
	v_sub_f16_e32 v17, v27, v17
	;; [unrolled: 1-line block ×3, first 2 shown]
	s_wait_loadcnt 0x5
	v_sub_f16_e32 v18, v24, v18
	v_sub_f16_e32 v50, v25, v38
	v_fma_f16 v49, v0, 2.0, -v47
	v_lshrrev_b32_e32 v0, 16, v24
	v_fma_f16 v51, v5, 2.0, -v48
	s_wait_loadcnt 0x4
	v_lshrrev_b32_e32 v5, 16, v13
	v_fma_f16 v52, v25, 2.0, -v50
	s_wait_loadcnt 0x3
	v_lshrrev_b32_e32 v25, 16, v11
	v_sub_f16_e32 v53, v0, v37
	v_fma_f16 v23, v23, 2.0, -v6
	v_sub_f16_e32 v54, v5, v36
	v_sub_f16_e32 v20, v28, v20
	;; [unrolled: 1-line block ×3, first 2 shown]
	v_fma_f16 v55, v0, 2.0, -v53
	s_wait_loadcnt 0x2
	v_lshrrev_b32_e32 v0, 16, v9
	v_fma_f16 v57, v5, 2.0, -v54
	s_wait_loadcnt 0x1
	v_lshrrev_b32_e32 v5, 16, v7
	;; [unrolled: 3-line block ×3, first 2 shown]
	v_sub_f16_e32 v59, v0, v32
	v_sub_f16_e32 v10, v7, v10
	v_fma_f16 v33, v33, 2.0, -v26
	v_fma_f16 v31, v31, 2.0, -v19
	;; [unrolled: 1-line block ×4, first 2 shown]
	v_sub_f16_e32 v15, v13, v15
	v_sub_f16_e32 v16, v11, v16
	;; [unrolled: 1-line block ×6, first 2 shown]
	v_fma_f16 v34, v34, 2.0, -v21
	v_add_nc_u32_e32 v29, 63, v22
	v_fma_f16 v62, v0, 2.0, -v59
	v_add_nc_u32_e32 v0, 0x7e, v22
	v_pack_b32_f16 v6, v23, v6
	v_add_nc_u32_e32 v23, 0xbd, v22
	v_fma_f16 v39, v28, 2.0, -v20
	v_fma_f16 v7, v7, 2.0, -v10
	v_add_nc_u32_e32 v28, 0xfc, v22
	v_fma_f16 v13, v13, 2.0, -v15
	v_fma_f16 v11, v11, 2.0, -v16
	;; [unrolled: 1-line block ×6, first 2 shown]
	v_lshlrev_b32_e32 v5, 1, v22
	v_lshl_add_u32 v65, v22, 2, 0
	v_pack_b32_f16 v32, v33, v26
	v_add_nc_u32_e32 v25, 0x13b, v22
	v_pack_b32_f16 v19, v31, v19
	v_add_nc_u32_e32 v26, 0x17a, v22
	v_add_nc_u32_e32 v27, 0x1b9, v22
	v_pack_b32_f16 v31, v38, v17
	v_add_nc_u32_e32 v72, 0x1f8, v22
	v_pack_b32_f16 v24, v24, v18
	v_add_nc_u32_e32 v30, 0x237, v22
	v_add_nc_u32_e32 v18, 0x276, v22
	;; [unrolled: 1-line block ×3, first 2 shown]
	v_lshl_add_u32 v66, v29, 2, 0
	v_pack_b32_f16 v21, v34, v21
	v_lshl_add_u32 v67, v0, 2, 0
	v_lshl_add_u32 v68, v23, 2, 0
	;; [unrolled: 1-line block ×3, first 2 shown]
	v_pack_b32_f16 v20, v39, v20
	v_pack_b32_f16 v7, v7, v10
	s_load_b64 s[2:3], s[2:3], 0x0
	v_lshl_add_u32 v70, v25, 2, 0
	v_lshl_add_u32 v71, v26, 2, 0
	;; [unrolled: 1-line block ×3, first 2 shown]
	v_pack_b32_f16 v13, v13, v15
	v_lshl_add_u32 v15, v72, 2, 0
	v_pack_b32_f16 v11, v11, v16
	v_lshl_add_u32 v16, v30, 2, 0
	;; [unrolled: 2-line block ×3, first 2 shown]
	v_lshl_add_u32 v10, v17, 2, 0
	v_pack_b32_f16 v8, v8, v12
	ds_store_b32 v65, v6
	ds_store_b32 v66, v21
	;; [unrolled: 1-line block ×12, first 2 shown]
	v_add_nc_u32_e32 v24, 0, v5
	v_pack_b32_f16 v6, v44, v43
	v_pack_b32_f16 v7, v45, v42
	;; [unrolled: 1-line block ×10, first 2 shown]
	global_wb scope:SCOPE_SE
	s_wait_dscnt 0x0
	s_wait_kmcnt 0x0
	s_barrier_signal -1
	s_barrier_wait -1
	global_inv scope:SCOPE_SE
	ds_load_u16 v40, v24 offset:1764
	ds_load_u16 v74, v24 offset:1890
	ds_load_u16 v31, v24
	ds_load_u16 v21, v24 offset:126
	ds_load_u16 v19, v24 offset:252
	;; [unrolled: 1-line block ×21, first 2 shown]
	global_wb scope:SCOPE_SE
	s_wait_dscnt 0x0
	s_barrier_signal -1
	s_barrier_wait -1
	global_inv scope:SCOPE_SE
	v_pack_b32_f16 v12, v52, v50
	v_pack_b32_f16 v13, v55, v53
	ds_store_b32 v65, v6
	ds_store_b32 v66, v7
	;; [unrolled: 1-line block ×8, first 2 shown]
	v_and_b32_e32 v41, 1, v23
	ds_store_b32 v15, v42
	ds_store_b32 v16, v43
	;; [unrolled: 1-line block ×4, first 2 shown]
	v_and_b32_e32 v42, 1, v25
	v_and_b32_e32 v43, 1, v27
	;; [unrolled: 1-line block ×4, first 2 shown]
	v_lshlrev_b32_e32 v6, 2, v41
	v_lshlrev_b32_e32 v7, 2, v42
	v_lshlrev_b32_e32 v8, 2, v43
	v_and_b32_e32 v47, 1, v22
	v_lshlrev_b32_e32 v9, 2, v44
	v_lshlrev_b32_e32 v10, 2, v46
	global_wb scope:SCOPE_SE
	s_wait_dscnt 0x0
	s_barrier_signal -1
	s_barrier_wait -1
	global_inv scope:SCOPE_SE
	s_clause 0x3
	global_load_u16 v45, v6, s[4:5] offset:2
	global_load_u16 v48, v7, s[4:5] offset:2
	;; [unrolled: 1-line block ×4, first 2 shown]
	v_lshlrev_b32_e32 v11, 2, v47
	v_and_b32_e32 v58, 1, v29
	s_clause 0x6
	global_load_u16 v51, v10, s[4:5] offset:2
	global_load_b32 v52, v10, s[4:5]
	global_load_u16 v53, v7, s[4:5]
	global_load_b32 v54, v11, s[4:5]
	global_load_u16 v55, v6, s[4:5]
	global_load_u16 v56, v9, s[4:5]
	;; [unrolled: 1-line block ×3, first 2 shown]
	v_lshlrev_b32_e32 v8, 1, v23
	v_lshlrev_b32_e32 v10, 1, v25
	;; [unrolled: 1-line block ×5, first 2 shown]
	v_and_or_b32 v41, 0x1fc, v8, v41
	v_and_or_b32 v42, 0x2fc, v10, v42
	;; [unrolled: 1-line block ×3, first 2 shown]
	global_load_u16 v59, v6, s[4:5]
	v_lshlrev_b32_e32 v6, 1, v29
	v_lshl_add_u32 v65, v41, 1, 0
	v_lshl_add_u32 v66, v42, 1, 0
	;; [unrolled: 1-line block ×3, first 2 shown]
	ds_load_u16 v41, v24 offset:1638
	ds_load_u16 v42, v24 offset:1890
	;; [unrolled: 1-line block ×11, first 2 shown]
	ds_load_u16 v87, v24
	ds_load_u16 v88, v24 offset:126
	ds_load_u16 v89, v24 offset:252
	;; [unrolled: 1-line block ×12, first 2 shown]
	v_lshlrev_b32_e32 v7, 1, v0
	v_lshlrev_b32_e32 v9, 1, v28
	;; [unrolled: 1-line block ×3, first 2 shown]
	v_and_or_b32 v60, 0x7c, v5, v47
	v_and_or_b32 v58, 0xfc, v6, v58
	v_lshlrev_b32_e32 v14, 1, v30
	v_and_or_b32 v61, 0x1fc, v7, v47
	v_lshlrev_b32_e32 v15, 1, v18
	v_lshl_add_u32 v60, v60, 1, 0
	v_and_or_b32 v62, 0x3fc, v9, v47
	v_and_or_b32 v63, 0x3fc, v11, v47
	v_lshlrev_b32_e32 v16, 1, v17
	v_and_or_b32 v64, 0x7fc, v13, v47
	v_lshl_add_u32 v58, v58, 1, 0
	v_and_or_b32 v44, 0x4fc, v14, v44
	v_lshl_add_u32 v61, v61, 1, 0
	v_lshl_add_u32 v62, v62, 1, 0
	;; [unrolled: 1-line block ×3, first 2 shown]
	global_wb scope:SCOPE_SE
	s_wait_loadcnt_dscnt 0x0
	s_barrier_signal -1
	s_barrier_wait -1
	global_inv scope:SCOPE_SE
	v_lshl_add_u32 v64, v64, 1, 0
	v_cmp_gt_u32_e64 s0, 9, v22
	v_mul_f16_e32 v104, v68, v51
	v_mul_f16_e32 v51, v84, v51
	;; [unrolled: 1-line block ×3, first 2 shown]
	v_lshrrev_b32_e32 v106, 16, v54
	v_mul_f16_e32 v45, v74, v45
	v_mul_f16_e32 v101, v85, v48
	;; [unrolled: 1-line block ×7, first 2 shown]
	v_lshrrev_b32_e32 v105, 16, v52
	v_fmac_f16_e32 v104, v84, v52
	v_fma_f16 v51, v68, v52, -v51
	v_mul_f16_e32 v52, v95, v106
	v_fma_f16 v42, v42, v55, -v45
	v_fma_f16 v45, v85, v53, -v48
	;; [unrolled: 1-line block ×4, first 2 shown]
	v_mul_f16_e32 v50, v41, v105
	v_fmac_f16_e32 v100, v74, v55
	v_fmac_f16_e32 v101, v78, v53
	;; [unrolled: 1-line block ×3, first 2 shown]
	v_mul_f16_e32 v53, v75, v105
	v_mul_f16_e32 v55, v76, v106
	;; [unrolled: 1-line block ×3, first 2 shown]
	v_fmac_f16_e32 v102, v80, v57
	v_mul_f16_e32 v57, v40, v106
	v_mul_f16_e32 v68, v86, v106
	;; [unrolled: 1-line block ×5, first 2 shown]
	v_fmac_f16_e32 v52, v76, v54
	v_mul_f16_e32 v78, v71, v106
	v_fmac_f16_e32 v50, v75, v59
	v_fma_f16 v41, v41, v59, -v53
	v_fma_f16 v53, v95, v54, -v55
	v_fmac_f16_e32 v56, v40, v54
	v_mul_f16_e32 v80, v81, v106
	v_mul_f16_e32 v82, v69, v106
	;; [unrolled: 1-line block ×3, first 2 shown]
	v_fma_f16 v40, v43, v54, -v57
	v_fmac_f16_e32 v68, v77, v54
	v_fma_f16 v43, v86, v54, -v70
	v_fmac_f16_e32 v72, v79, v54
	v_fma_f16 v55, v73, v54, -v74
	v_sub_f16_e32 v74, v96, v51
	v_sub_f16_e32 v51, v31, v52
	v_fmac_f16_e32 v78, v81, v54
	v_sub_f16_e32 v50, v21, v50
	v_sub_f16_e32 v52, v87, v53
	;; [unrolled: 1-line block ×4, first 2 shown]
	v_fma_f16 v57, v71, v54, -v80
	v_fmac_f16_e32 v82, v83, v54
	v_fma_f16 v54, v69, v54, -v84
	v_sub_f16_e32 v59, v38, v100
	v_sub_f16_e32 v69, v90, v42
	;; [unrolled: 1-line block ×7, first 2 shown]
	v_fma_f16 v31, v31, 2.0, -v51
	v_sub_f16_e32 v70, v93, v45
	v_sub_f16_e32 v45, v36, v102
	;; [unrolled: 1-line block ×3, first 2 shown]
	v_fma_f16 v21, v21, 2.0, -v50
	v_sub_f16_e32 v71, v91, v48
	v_sub_f16_e32 v48, v37, v103
	v_fma_f16 v19, v19, 2.0, -v41
	v_fma_f16 v38, v38, 2.0, -v59
	;; [unrolled: 1-line block ×3, first 2 shown]
	v_sub_f16_e32 v79, v34, v82
	v_fma_f16 v20, v20, 2.0, -v40
	v_fma_f16 v32, v32, 2.0, -v43
	ds_store_b16 v60, v51 offset:4
	ds_store_b16 v60, v31
	ds_store_b16 v58, v21
	ds_store_b16 v58, v50 offset:4
	ds_store_b16 v61, v19
	ds_store_b16 v61, v41 offset:4
	;; [unrolled: 2-line block ×6, first 2 shown]
	v_and_or_b32 v19, 0x5fc, v15, v47
	v_sub_f16_e32 v73, v98, v49
	v_sub_f16_e32 v49, v39, v104
	v_fma_f16 v36, v36, 2.0, -v45
	v_fma_f16 v33, v33, 2.0, -v77
	v_and_or_b32 v20, 0x5fc, v16, v46
	v_sub_f16_e32 v55, v92, v55
	v_sub_f16_e32 v57, v99, v57
	v_fma_f16 v37, v37, 2.0, -v48
	v_fma_f16 v81, v87, 2.0, -v52
	v_lshl_add_u32 v59, v44, 1, 0
	v_fma_f16 v82, v88, 2.0, -v53
	v_fma_f16 v34, v34, 2.0, -v79
	v_lshl_add_u32 v88, v19, 1, 0
	v_sub_f16_e32 v54, v97, v54
	v_fma_f16 v39, v39, 2.0, -v49
	v_fma_f16 v83, v89, 2.0, -v56
	ds_store_b16 v67, v36
	ds_store_b16 v67, v45 offset:4
	ds_store_b16 v64, v33
	ds_store_b16 v64, v77 offset:4
	v_lshl_add_u32 v77, v20, 1, 0
	v_fma_f16 v75, v90, 2.0, -v69
	v_fma_f16 v76, v93, 2.0, -v70
	;; [unrolled: 1-line block ×7, first 2 shown]
	ds_store_b16 v59, v37
	ds_store_b16 v59, v48 offset:4
	ds_store_b16 v88, v34
	ds_store_b16 v88, v79 offset:4
	;; [unrolled: 2-line block ×3, first 2 shown]
	global_wb scope:SCOPE_SE
	s_wait_dscnt 0x0
	s_barrier_signal -1
	s_barrier_wait -1
	global_inv scope:SCOPE_SE
	ds_load_u16 v40, v24 offset:1764
	ds_load_u16 v41, v24 offset:1890
	ds_load_u16 v32, v24
	ds_load_u16 v31, v24 offset:126
	ds_load_u16 v21, v24 offset:252
	;; [unrolled: 1-line block ×21, first 2 shown]
	global_wb scope:SCOPE_SE
	s_wait_dscnt 0x0
	s_barrier_signal -1
	s_barrier_wait -1
	global_inv scope:SCOPE_SE
	ds_store_b16 v60, v81
	ds_store_b16 v60, v52 offset:4
	ds_store_b16 v58, v82
	ds_store_b16 v58, v53 offset:4
	;; [unrolled: 2-line block ×10, first 2 shown]
	v_and_b32_e32 v56, 3, v25
	v_and_b32_e32 v68, 3, v27
	;; [unrolled: 1-line block ×6, first 2 shown]
	v_fma_f16 v87, v97, 2.0, -v54
	v_lshlrev_b32_e32 v57, 2, v56
	v_lshlrev_b32_e32 v62, 2, v68
	v_and_b32_e32 v72, 3, v18
	v_lshlrev_b32_e32 v18, 2, v70
	v_fma_f16 v80, v96, 2.0, -v74
	v_lshlrev_b32_e32 v60, 2, v61
	v_and_b32_e32 v73, 3, v23
	v_lshlrev_b32_e32 v55, 2, v71
	v_lshlrev_b32_e32 v30, 2, v69
	ds_store_b16 v88, v87
	ds_store_b16 v88, v54 offset:4
	ds_store_b16 v77, v80
	ds_store_b16 v77, v74 offset:4
	v_and_b32_e32 v74, 3, v17
	global_wb scope:SCOPE_SE
	s_wait_dscnt 0x0
	s_barrier_signal -1
	s_barrier_wait -1
	global_inv scope:SCOPE_SE
	s_clause 0x3
	global_load_u16 v53, v57, s[4:5] offset:10
	global_load_u16 v52, v60, s[4:5] offset:10
	;; [unrolled: 1-line block ×3, first 2 shown]
	global_load_b32 v17, v18, s[4:5] offset:8
	v_lshlrev_b32_e32 v59, 2, v72
	v_lshlrev_b32_e32 v63, 2, v73
	s_clause 0x2
	global_load_u16 v18, v55, s[4:5] offset:8
	global_load_u16 v67, v30, s[4:5] offset:10
	global_load_b32 v58, v30, s[4:5] offset:8
	v_and_b32_e32 v75, 3, v29
	v_lshlrev_b32_e32 v30, 2, v74
	s_clause 0x7
	global_load_u16 v65, v59, s[4:5] offset:10
	global_load_u16 v55, v63, s[4:5] offset:8
	global_load_b32 v59, v59, s[4:5] offset:8
	global_load_u16 v62, v62, s[4:5] offset:8
	global_load_u16 v66, v30, s[4:5] offset:10
	;; [unrolled: 1-line block ×3, first 2 shown]
	global_load_b32 v60, v30, s[4:5] offset:8
	global_load_u16 v64, v57, s[4:5] offset:8
	v_and_or_b32 v76, 0x78, v5, v70
	v_and_or_b32 v7, 0x1f8, v7, v71
	v_lshlrev_b32_e32 v30, 2, v75
	v_and_or_b32 v6, 0xf8, v6, v75
	v_and_or_b32 v8, 0x1f8, v8, v73
	;; [unrolled: 1-line block ×4, first 2 shown]
	global_load_u16 v57, v30, s[4:5] offset:8
	v_and_or_b32 v11, 0x3f8, v11, v61
	v_and_or_b32 v12, 0x3f8, v12, v68
	;; [unrolled: 1-line block ×6, first 2 shown]
	ds_load_u16 v56, v24 offset:1764
	ds_load_u16 v61, v24 offset:1890
	;; [unrolled: 1-line block ×10, first 2 shown]
	ds_load_u16 v78, v24
	ds_load_u16 v79, v24 offset:126
	ds_load_u16 v80, v24 offset:252
	;; [unrolled: 1-line block ×13, first 2 shown]
	v_lshl_add_u32 v76, v76, 1, 0
	v_lshl_add_u32 v6, v6, 1, 0
	;; [unrolled: 1-line block ×12, first 2 shown]
	global_wb scope:SCOPE_SE
	s_wait_loadcnt_dscnt 0x0
	s_barrier_signal -1
	s_barrier_wait -1
	global_inv scope:SCOPE_SE
	v_and_b32_e32 v30, 7, v22
	s_delay_alu instid0(VALU_DEP_1)
	v_lshlrev_b32_e32 v77, 3, v30
	v_mul_f16_e32 v92, v74, v53
	v_mul_f16_e32 v93, v68, v52
	;; [unrolled: 1-line block ×5, first 2 shown]
	v_lshrrev_b32_e32 v96, 16, v17
	v_mul_f16_e32 v95, v72, v67
	v_mul_f16_e32 v67, v49, v67
	v_lshrrev_b32_e32 v98, 16, v58
	v_mul_f16_e32 v100, v71, v66
	v_mul_f16_e32 v53, v51, v53
	v_mul_f16_e32 v97, v70, v65
	v_mul_f16_e32 v65, v47, v65
	v_lshrrev_b32_e32 v99, 16, v59
	v_mul_f16_e32 v66, v46, v66
	v_lshrrev_b32_e32 v101, 16, v60
	v_fmac_f16_e32 v93, v50, v63
	v_fma_f16 v50, v68, v63, -v52
	v_fmac_f16_e32 v94, v48, v62
	v_fma_f16 v48, v69, v62, -v54
	v_mul_f16_e32 v52, v90, v96
	v_mul_f16_e32 v54, v44, v96
	v_fmac_f16_e32 v95, v49, v58
	v_fma_f16 v49, v72, v58, -v67
	v_fmac_f16_e32 v100, v46, v60
	v_mul_f16_e32 v46, v89, v98
	v_mul_f16_e32 v58, v45, v98
	v_fmac_f16_e32 v92, v51, v64
	v_fma_f16 v51, v74, v64, -v53
	v_fmac_f16_e32 v97, v47, v59
	v_fma_f16 v47, v70, v59, -v65
	v_fma_f16 v53, v71, v60, -v66
	v_mul_f16_e32 v59, v56, v99
	v_mul_f16_e32 v60, v40, v99
	;; [unrolled: 1-line block ×8, first 2 shown]
	v_fmac_f16_e32 v52, v44, v17
	v_fma_f16 v44, v90, v17, -v54
	v_fmac_f16_e32 v46, v45, v57
	v_fma_f16 v45, v89, v57, -v58
	v_fmac_f16_e32 v59, v40, v18
	v_fma_f16 v18, v56, v18, -v60
	v_fmac_f16_e32 v62, v41, v55
	v_fma_f16 v41, v75, v17, -v65
	v_fmac_f16_e32 v66, v43, v17
	v_fma_f16 v40, v61, v55, -v63
	v_fmac_f16_e32 v64, v42, v17
	v_fma_f16 v17, v73, v17, -v67
	v_sub_f16_e32 v63, v78, v44
	v_sub_f16_e32 v55, v83, v51
	;; [unrolled: 1-line block ×24, first 2 shown]
	v_fma_f16 v71, v78, 2.0, -v63
	v_fma_f16 v32, v32, 2.0, -v51
	;; [unrolled: 1-line block ×24, first 2 shown]
	ds_store_b16 v76, v51 offset:8
	ds_store_b16 v76, v32
	ds_store_b16 v6, v31
	ds_store_b16 v6, v44 offset:8
	ds_store_b16 v7, v21
	ds_store_b16 v7, v45 offset:8
	;; [unrolled: 2-line block ×11, first 2 shown]
	global_wb scope:SCOPE_SE
	s_wait_dscnt 0x0
	s_barrier_signal -1
	s_barrier_wait -1
	global_inv scope:SCOPE_SE
	ds_load_u16 v38, v24
	ds_load_u16 v37, v24 offset:126
	ds_load_u16 v36, v24 offset:252
	;; [unrolled: 1-line block ×23, first 2 shown]
	global_wb scope:SCOPE_SE
	s_wait_dscnt 0x0
	s_barrier_signal -1
	s_barrier_wait -1
	global_inv scope:SCOPE_SE
	ds_store_b16 v76, v71
	ds_store_b16 v76, v63 offset:8
	ds_store_b16 v6, v72
	ds_store_b16 v6, v65 offset:8
	;; [unrolled: 2-line block ×12, first 2 shown]
	v_and_b32_e32 v55, 7, v29
	v_and_b32_e32 v56, 7, v0
	v_and_b32_e32 v57, 7, v23
	v_and_b32_e32 v58, 7, v28
	v_and_b32_e32 v59, 7, v25
	v_lshlrev_b32_e32 v8, 3, v55
	v_lshlrev_b32_e32 v10, 3, v56
	;; [unrolled: 1-line block ×4, first 2 shown]
	v_and_b32_e32 v60, 7, v26
	v_and_b32_e32 v61, 7, v27
	global_wb scope:SCOPE_SE
	s_wait_dscnt 0x0
	s_barrier_signal -1
	s_barrier_wait -1
	global_inv scope:SCOPE_SE
	s_clause 0x3
	global_load_b64 v[8:9], v8, s[4:5] offset:24
	global_load_b64 v[20:21], v10, s[4:5] offset:24
	;; [unrolled: 1-line block ×4, first 2 shown]
	v_lshlrev_b32_e32 v10, 3, v59
	global_load_b64 v[6:7], v77, s[4:5] offset:24
	v_lshlrev_b32_e32 v11, 3, v60
	v_lshlrev_b32_e32 v62, 3, v61
	s_clause 0x2
	global_load_b64 v[14:15], v10, s[4:5] offset:24
	global_load_b64 v[12:13], v11, s[4:5] offset:24
	;; [unrolled: 1-line block ×3, first 2 shown]
	v_lshrrev_b32_e32 v62, 3, v22
	v_lshrrev_b32_e32 v64, 3, v29
	;; [unrolled: 1-line block ×5, first 2 shown]
	v_mul_u32_u24_e32 v62, 24, v62
	v_lshrrev_b32_e32 v68, 3, v25
	v_lshrrev_b32_e32 v69, 3, v26
	;; [unrolled: 1-line block ×3, first 2 shown]
	v_and_b32_e32 v63, 0xff, v22
	v_or_b32_e32 v30, v62, v30
	v_mul_u32_u24_e32 v62, 24, v64
	v_mul_u32_u24_e32 v64, 24, v65
	;; [unrolled: 1-line block ×7, first 2 shown]
	v_lshl_add_u32 v70, v30, 1, 0
	v_or_b32_e32 v30, v62, v55
	v_or_b32_e32 v55, v64, v56
	;; [unrolled: 1-line block ×7, first 2 shown]
	v_lshl_add_u32 v61, v30, 1, 0
	ds_load_u16 v62, v24
	ds_load_u16 v64, v24 offset:126
	ds_load_u16 v65, v24 offset:252
	;; [unrolled: 1-line block ×23, first 2 shown]
	v_mul_lo_u16 v63, 0xab, v63
	v_lshl_add_u32 v55, v55, 1, 0
	v_lshl_add_u32 v56, v56, 1, 0
	;; [unrolled: 1-line block ×6, first 2 shown]
	global_wb scope:SCOPE_SE
	s_wait_loadcnt_dscnt 0x0
	s_barrier_signal -1
	s_barrier_wait -1
	global_inv scope:SCOPE_SE
	v_lshrrev_b32_e32 v89, 16, v8
	v_lshrrev_b32_e32 v90, 16, v9
	;; [unrolled: 1-line block ×16, first 2 shown]
	v_mul_f16_e32 v103, v30, v87
	v_mul_f16_e32 v104, v79, v88
	;; [unrolled: 1-line block ×26, first 2 shown]
	v_fmac_f16_e32 v103, v51, v6
	v_fmac_f16_e32 v104, v54, v7
	v_mul_f16_e32 v93, v45, v93
	v_mul_f16_e32 v94, v50, v94
	;; [unrolled: 1-line block ×4, first 2 shown]
	v_fma_f16 v6, v30, v6, -v87
	v_fma_f16 v7, v79, v7, -v88
	v_fmac_f16_e32 v105, v49, v8
	v_fmac_f16_e32 v106, v53, v9
	v_mul_f16_e32 v99, v40, v99
	v_mul_f16_e32 v100, v44, v100
	v_fmac_f16_e32 v107, v47, v20
	v_fmac_f16_e32 v108, v52, v21
	;; [unrolled: 1-line block ×12, first 2 shown]
	v_fma_f16 v8, v72, v8, -v89
	v_fma_f16 v9, v80, v9, -v90
	;; [unrolled: 1-line block ×8, first 2 shown]
	v_add_f16_e32 v39, v103, v104
	v_fma_f16 v18, v74, v18, -v93
	v_fma_f16 v19, v82, v19, -v94
	;; [unrolled: 1-line block ×4, first 2 shown]
	v_sub_f16_e32 v40, v6, v7
	v_add_f16_e32 v41, v62, v6
	v_add_f16_e32 v6, v6, v7
	;; [unrolled: 1-line block ×3, first 2 shown]
	v_fma_f16 v12, v77, v12, -v99
	v_fma_f16 v13, v85, v13, -v100
	v_add_f16_e32 v30, v38, v103
	v_add_f16_e32 v49, v107, v108
	;; [unrolled: 1-line block ×7, first 2 shown]
	v_sub_f16_e32 v45, v8, v9
	v_add_f16_e32 v46, v64, v8
	v_add_f16_e32 v8, v8, v9
	v_sub_f16_e32 v50, v20, v21
	v_add_f16_e32 v51, v65, v20
	v_add_f16_e32 v20, v20, v21
	v_sub_f16_e32 v82, v14, v15
	v_add_f16_e32 v83, v68, v14
	v_add_f16_e32 v14, v14, v15
	v_sub_f16_e32 v92, v10, v11
	v_add_f16_e32 v93, v71, v10
	v_add_f16_e32 v10, v10, v11
	v_fmac_f16_e32 v38, -0.5, v39
	v_add_f16_e32 v43, v37, v105
	v_sub_f16_e32 v72, v18, v19
	v_add_f16_e32 v73, v66, v18
	v_add_f16_e32 v18, v18, v19
	v_sub_f16_e32 v77, v16, v17
	v_add_f16_e32 v78, v67, v16
	;; [unrolled: 3-line block ×3, first 2 shown]
	v_fmac_f16_e32 v62, -0.5, v6
	v_fmac_f16_e32 v37, -0.5, v44
	v_add_f16_e32 v53, v35, v109
	v_add_f16_e32 v75, v34, v111
	v_add_f16_e32 v80, v33, v113
	v_add_f16_e32 v85, v32, v115
	v_sub_f16_e32 v87, v12, v13
	v_add_f16_e32 v88, v69, v12
	v_add_f16_e32 v12, v12, v13
	;; [unrolled: 1-line block ×4, first 2 shown]
	v_fmac_f16_e32 v36, -0.5, v49
	v_fmac_f16_e32 v35, -0.5, v54
	;; [unrolled: 1-line block ×6, first 2 shown]
	v_sub_f16_e32 v47, v105, v106
	v_sub_f16_e32 v52, v107, v108
	;; [unrolled: 1-line block ×3, first 2 shown]
	v_fmac_f16_e32 v64, -0.5, v8
	v_fmac_f16_e32 v65, -0.5, v20
	;; [unrolled: 1-line block ×4, first 2 shown]
	v_fmamk_f16 v10, v40, 0xbaee, v38
	v_fmac_f16_e32 v38, 0x3aee, v40
	v_sub_f16_e32 v74, v109, v110
	v_sub_f16_e32 v79, v111, v112
	v_add_f16_e32 v95, v41, v7
	v_add_f16_e32 v6, v43, v106
	v_fmac_f16_e32 v66, -0.5, v18
	v_fmac_f16_e32 v67, -0.5, v16
	v_add_f16_e32 v7, v48, v108
	v_add_f16_e32 v48, v93, v11
	v_fmamk_f16 v49, v42, 0x3aee, v62
	v_fmamk_f16 v11, v45, 0xbaee, v37
	v_add_f16_e32 v44, v46, v9
	v_add_f16_e32 v8, v51, v21
	;; [unrolled: 1-line block ×8, first 2 shown]
	v_fmac_f16_e32 v69, -0.5, v12
	v_add_f16_e32 v12, v90, v118
	v_fmac_f16_e32 v62, 0xbaee, v42
	v_fmac_f16_e32 v37, 0x3aee, v45
	v_fmamk_f16 v13, v50, 0xbaee, v36
	v_fmac_f16_e32 v36, 0x3aee, v50
	v_fmamk_f16 v20, v72, 0xbaee, v35
	;; [unrolled: 2-line block ×6, first 2 shown]
	v_fmac_f16_e32 v31, 0x3aee, v92
	ds_store_b16 v70, v30
	ds_store_b16 v70, v10 offset:16
	ds_store_b16 v70, v38 offset:32
	ds_store_b16 v61, v6
	ds_store_b16 v61, v11 offset:16
	ds_store_b16 v61, v37 offset:32
	;; [unrolled: 3-line block ×8, first 2 shown]
	v_and_b32_e32 v6, 0xff, v29
	v_fmamk_f16 v45, v47, 0x3aee, v64
	v_fmac_f16_e32 v64, 0xbaee, v47
	v_fmamk_f16 v47, v52, 0x3aee, v65
	v_fmac_f16_e32 v65, 0xbaee, v52
	;; [unrolled: 2-line block ×3, first 2 shown]
	v_add_f16_e32 v19, v73, v19
	v_add_f16_e32 v17, v78, v17
	v_fmamk_f16 v50, v74, 0x3aee, v66
	v_fmac_f16_e32 v66, 0xbaee, v74
	v_fmamk_f16 v51, v79, 0x3aee, v67
	v_fmac_f16_e32 v67, 0xbaee, v79
	global_wb scope:SCOPE_SE
	s_wait_dscnt 0x0
	s_barrier_signal -1
	s_barrier_wait -1
	global_inv scope:SCOPE_SE
	ds_load_u16 v16, v24
	ds_load_u16 v14, v24 offset:126
	ds_load_u16 v13, v24 offset:252
	;; [unrolled: 1-line block ×23, first 2 shown]
	global_wb scope:SCOPE_SE
	s_wait_dscnt 0x0
	s_barrier_signal -1
	s_barrier_wait -1
	global_inv scope:SCOPE_SE
	ds_store_b16 v70, v95
	ds_store_b16 v70, v49 offset:16
	ds_store_b16 v70, v62 offset:32
	ds_store_b16 v61, v44
	ds_store_b16 v61, v45 offset:16
	ds_store_b16 v61, v64 offset:32
	;; [unrolled: 3-line block ×5, first 2 shown]
	v_lshrrev_b16 v44, 12, v63
	ds_store_b16 v58, v15
	ds_store_b16 v58, v52 offset:16
	ds_store_b16 v58, v68 offset:32
	v_mul_lo_u16 v15, 0xab, v6
	v_and_b32_e32 v6, 0xff, v0
	v_sub_f16_e32 v89, v115, v116
	v_mul_lo_u16 v8, v44, 24
	v_and_b32_e32 v18, 0xffff, v28
	v_lshrrev_b16 v45, 12, v15
	v_mul_lo_u16 v15, 0xab, v6
	v_fmamk_f16 v53, v89, 0x3aee, v69
	v_sub_nc_u16 v8, v22, v8
	v_fmac_f16_e32 v69, 0xbaee, v89
	v_mul_lo_u16 v17, v45, 24
	v_lshrrev_b16 v47, 12, v15
	ds_store_b16 v59, v46
	ds_store_b16 v59, v53 offset:16
	ds_store_b16 v59, v69 offset:32
	v_and_b32_e32 v46, 0xff, v8
	v_and_b32_e32 v8, 0xff, v23
	v_sub_nc_u16 v15, v29, v17
	v_mul_lo_u16 v17, v47, 24
	v_mul_u32_u24_e32 v49, 0xaaab, v18
	v_sub_f16_e32 v94, v117, v118
	v_mul_lo_u16 v19, 0xab, v8
	v_and_b32_e32 v64, 0xff, v15
	v_sub_nc_u16 v15, v0, v17
	v_and_b32_e32 v17, 0xffff, v26
	v_lshrrev_b32_e32 v67, 20, v49
	v_lshrrev_b16 v65, 12, v19
	v_and_b32_e32 v19, 0xffff, v25
	v_and_b32_e32 v66, 0xff, v15
	;; [unrolled: 1-line block ×3, first 2 shown]
	v_fmamk_f16 v54, v94, 0x3aee, v71
	v_fmac_f16_e32 v71, 0xbaee, v94
	v_mul_u32_u24_e32 v49, 0xaaab, v19
	v_mul_lo_u16 v51, v65, 24
	v_mul_u32_u24_e32 v53, 0xaaab, v17
	ds_store_b16 v60, v48
	ds_store_b16 v60, v54 offset:16
	ds_store_b16 v60, v71 offset:32
	v_mul_lo_u16 v54, v67, 24
	v_mul_u32_u24_e32 v55, 0xaaab, v15
	v_lshrrev_b32_e32 v68, 20, v49
	v_sub_nc_u16 v49, v23, v51
	v_lshrrev_b32_e32 v69, 20, v53
	v_sub_nc_u16 v51, v28, v54
	v_lshrrev_b32_e32 v70, 20, v55
	v_mul_lo_u16 v53, v68, 24
	v_and_b32_e32 v71, 0xff, v49
	v_mul_lo_u16 v49, v69, 24
	v_and_b32_e32 v72, 0xffff, v51
	v_mul_lo_u16 v51, v70, 24
	v_sub_nc_u16 v53, v25, v53
	v_lshlrev_b32_e32 v48, 3, v46
	v_sub_nc_u16 v55, v26, v49
	global_wb scope:SCOPE_SE
	s_wait_dscnt 0x0
	v_sub_nc_u16 v57, v27, v51
	v_and_b32_e32 v73, 0xffff, v53
	s_barrier_signal -1
	v_and_b32_e32 v74, 0xffff, v55
	s_barrier_wait -1
	v_and_b32_e32 v75, 0xffff, v57
	global_inv scope:SCOPE_SE
	v_lshlrev_b32_e32 v50, 3, v64
	v_lshlrev_b32_e32 v52, 3, v66
	;; [unrolled: 1-line block ×4, first 2 shown]
	s_clause 0x3
	global_load_b64 v[48:49], v48, s[4:5] offset:88
	global_load_b64 v[50:51], v50, s[4:5] offset:88
	;; [unrolled: 1-line block ×4, first 2 shown]
	v_lshlrev_b32_e32 v58, 3, v73
	v_lshlrev_b32_e32 v60, 3, v74
	;; [unrolled: 1-line block ×3, first 2 shown]
	s_clause 0x3
	global_load_b64 v[56:57], v56, s[4:5] offset:88
	global_load_b64 v[58:59], v58, s[4:5] offset:88
	;; [unrolled: 1-line block ×4, first 2 shown]
	v_and_b32_e32 v44, 0xffff, v44
	v_and_b32_e32 v45, 0xffff, v45
	v_and_b32_e32 v47, 0xffff, v47
	v_and_b32_e32 v65, 0xffff, v65
	v_mul_u32_u24_e32 v67, 0x90, v67
	v_mul_u32_u24_e32 v44, 0x90, v44
	;; [unrolled: 1-line block ×8, first 2 shown]
	v_lshlrev_b32_e32 v46, 1, v46
	v_lshlrev_b32_e32 v64, 1, v64
	;; [unrolled: 1-line block ×8, first 2 shown]
	v_add3_u32 v76, 0, v44, v46
	v_add3_u32 v64, 0, v45, v64
	;; [unrolled: 1-line block ×8, first 2 shown]
	ds_load_u16 v69, v24
	ds_load_u16 v70, v24 offset:126
	ds_load_u16 v71, v24 offset:252
	ds_load_u16 v72, v24 offset:378
	ds_load_u16 v73, v24 offset:504
	ds_load_u16 v74, v24 offset:630
	ds_load_u16 v47, v24 offset:756
	ds_load_u16 v46, v24 offset:882
	ds_load_u16 v75, v24 offset:1008
	ds_load_u16 v77, v24 offset:1134
	ds_load_u16 v78, v24 offset:1260
	ds_load_u16 v79, v24 offset:1386
	ds_load_u16 v80, v24 offset:1512
	ds_load_u16 v81, v24 offset:1638
	ds_load_u16 v82, v24 offset:1764
	ds_load_u16 v83, v24 offset:1890
	ds_load_u16 v84, v24 offset:2016
	ds_load_u16 v85, v24 offset:2142
	ds_load_u16 v86, v24 offset:2268
	ds_load_u16 v87, v24 offset:2394
	ds_load_u16 v88, v24 offset:2520
	ds_load_u16 v89, v24 offset:2646
	ds_load_u16 v90, v24 offset:2772
	ds_load_u16 v91, v24 offset:2898
	global_wb scope:SCOPE_SE
	s_wait_loadcnt_dscnt 0x0
	s_barrier_signal -1
	s_barrier_wait -1
	global_inv scope:SCOPE_SE
	v_mul_lo_u16 v8, v8, 57
	v_mul_u32_u24_e32 v18, 0xe38f, v18
	v_mul_u32_u24_e32 v19, 0xe38f, v19
	;; [unrolled: 1-line block ×4, first 2 shown]
	v_lshrrev_b16 v8, 12, v8
	v_lshrrev_b32_e32 v18, 22, v18
	v_lshrrev_b32_e32 v19, 22, v19
	;; [unrolled: 1-line block ×4, first 2 shown]
	s_delay_alu instid0(VALU_DEP_1) | instskip(NEXT) | instid1(VALU_DEP_1)
	v_mul_lo_u16 v15, 0x48, v15
	v_sub_nc_u16 v15, v27, v15
	s_delay_alu instid0(VALU_DEP_1)
	v_and_b32_e32 v15, 0xffff, v15
	v_lshrrev_b32_e32 v92, 16, v48
	v_lshrrev_b32_e32 v93, 16, v49
	v_lshrrev_b32_e32 v94, 16, v50
	v_lshrrev_b32_e32 v95, 16, v51
	v_lshrrev_b32_e32 v96, 16, v52
	v_lshrrev_b32_e32 v97, 16, v53
	v_lshrrev_b32_e32 v98, 16, v54
	v_lshrrev_b32_e32 v99, 16, v55
	v_lshrrev_b32_e32 v100, 16, v56
	v_lshrrev_b32_e32 v101, 16, v57
	v_lshrrev_b32_e32 v102, 16, v58
	v_lshrrev_b32_e32 v103, 16, v59
	v_lshrrev_b32_e32 v104, 16, v60
	v_lshrrev_b32_e32 v105, 16, v61
	v_lshrrev_b32_e32 v106, 16, v62
	v_lshrrev_b32_e32 v107, 16, v63
	v_mul_f16_e32 v108, v75, v92
	v_mul_f16_e32 v92, v42, v92
	;; [unrolled: 1-line block ×15, first 2 shown]
	v_fmac_f16_e32 v108, v42, v48
	v_mul_f16_e32 v42, v89, v103
	v_fma_f16 v48, v75, v48, -v92
	v_mul_f16_e32 v75, v82, v104
	v_mul_f16_e32 v92, v21, v104
	v_fmac_f16_e32 v109, v43, v49
	v_mul_f16_e32 v43, v90, v105
	v_mul_f16_e32 v104, v33, v105
	v_fma_f16 v49, v84, v49, -v93
	v_mul_f16_e32 v84, v83, v106
	v_mul_f16_e32 v105, v91, v107
	v_mul_f16_e32 v96, v36, v96
	v_mul_f16_e32 v97, v40, v97
	v_mul_f16_e32 v98, v34, v98
	v_mul_f16_e32 v99, v39, v99
	v_mul_f16_e32 v100, v32, v100
	v_mul_f16_e32 v101, v37, v101
	v_mul_f16_e32 v102, v30, v102
	v_mul_f16_e32 v103, v35, v103
	v_mul_f16_e32 v93, v20, v106
	v_mul_f16_e32 v106, v31, v107
	v_fmac_f16_e32 v110, v38, v50
	v_fma_f16 v38, v77, v50, -v94
	v_fmac_f16_e32 v111, v41, v51
	v_fma_f16 v41, v85, v51, -v95
	v_fmac_f16_e32 v112, v36, v52
	v_fmac_f16_e32 v113, v40, v53
	;; [unrolled: 1-line block ×12, first 2 shown]
	v_fma_f16 v36, v78, v52, -v96
	v_fma_f16 v40, v86, v53, -v97
	;; [unrolled: 1-line block ×10, first 2 shown]
	v_add_f16_e32 v51, v108, v109
	v_sub_f16_e32 v52, v48, v49
	v_add_f16_e32 v53, v69, v48
	v_add_f16_e32 v48, v48, v49
	v_fma_f16 v21, v82, v60, -v92
	v_fma_f16 v33, v90, v61, -v104
	v_add_f16_e32 v56, v110, v111
	v_sub_f16_e32 v57, v38, v41
	v_add_f16_e32 v58, v70, v38
	v_add_f16_e32 v38, v38, v41
	;; [unrolled: 1-line block ×9, first 2 shown]
	v_sub_f16_e32 v62, v36, v40
	v_add_f16_e32 v63, v71, v36
	v_add_f16_e32 v36, v36, v40
	v_sub_f16_e32 v80, v34, v39
	v_add_f16_e32 v81, v72, v34
	v_add_f16_e32 v34, v34, v39
	;; [unrolled: 3-line block ×4, first 2 shown]
	v_sub_f16_e32 v54, v108, v109
	v_sub_f16_e32 v100, v20, v31
	v_add_f16_e32 v101, v46, v20
	v_add_f16_e32 v20, v20, v31
	v_fmac_f16_e32 v16, -0.5, v51
	v_fmac_f16_e32 v69, -0.5, v48
	v_add_f16_e32 v55, v14, v110
	v_sub_f16_e32 v59, v110, v111
	v_add_f16_e32 v60, v13, v112
	v_add_f16_e32 v78, v12, v114
	;; [unrolled: 1-line block ×5, first 2 shown]
	v_sub_f16_e32 v96, v21, v33
	v_add_f16_e32 v97, v47, v21
	v_add_f16_e32 v21, v21, v33
	;; [unrolled: 1-line block ×3, first 2 shown]
	v_fmac_f16_e32 v14, -0.5, v56
	v_fmac_f16_e32 v70, -0.5, v38
	;; [unrolled: 1-line block ×8, first 2 shown]
	v_sub_f16_e32 v77, v112, v113
	v_sub_f16_e32 v82, v114, v115
	;; [unrolled: 1-line block ×4, first 2 shown]
	v_add_f16_e32 v50, v50, v109
	v_add_f16_e32 v49, v53, v49
	v_fmac_f16_e32 v71, -0.5, v36
	v_fmac_f16_e32 v72, -0.5, v34
	;; [unrolled: 1-line block ×5, first 2 shown]
	v_fmamk_f16 v20, v52, 0xbaee, v16
	v_fmac_f16_e32 v16, 0x3aee, v52
	v_fmamk_f16 v52, v54, 0x3aee, v69
	v_fmac_f16_e32 v69, 0xbaee, v54
	v_add_f16_e32 v48, v55, v111
	v_add_f16_e32 v51, v58, v41
	v_add_f16_e32 v38, v60, v113
	v_add_f16_e32 v53, v63, v40
	v_add_f16_e32 v36, v78, v115
	v_add_f16_e32 v55, v81, v39
	v_add_f16_e32 v34, v83, v117
	v_add_f16_e32 v56, v87, v37
	v_add_f16_e32 v32, v89, v42
	v_add_f16_e32 v58, v92, v35
	v_add_f16_e32 v30, v94, v43
	v_add_f16_e32 v60, v97, v33
	v_fmac_f16_e32 v47, -0.5, v21
	v_add_f16_e32 v21, v98, v105
	v_add_f16_e32 v61, v101, v31
	v_fmamk_f16 v31, v57, 0xbaee, v14
	v_fmac_f16_e32 v14, 0x3aee, v57
	v_fmamk_f16 v54, v59, 0x3aee, v70
	v_fmamk_f16 v33, v62, 0xbaee, v13
	v_fmac_f16_e32 v13, 0x3aee, v62
	v_fmamk_f16 v35, v80, 0xbaee, v12
	v_fmac_f16_e32 v12, 0x3aee, v80
	;; [unrolled: 2-line block ×6, first 2 shown]
	v_sub_f16_e32 v75, v75, v43
	v_fmac_f16_e32 v70, 0xbaee, v59
	v_fmamk_f16 v57, v77, 0x3aee, v71
	v_fmac_f16_e32 v71, 0xbaee, v77
	v_fmamk_f16 v59, v82, 0x3aee, v72
	;; [unrolled: 2-line block ×4, first 2 shown]
	v_fmac_f16_e32 v74, 0xbaee, v93
	ds_store_b16 v76, v50
	ds_store_b16 v76, v20 offset:48
	ds_store_b16 v76, v16 offset:96
	ds_store_b16 v64, v48
	ds_store_b16 v64, v31 offset:48
	ds_store_b16 v64, v14 offset:96
	;; [unrolled: 3-line block ×8, first 2 shown]
	global_wb scope:SCOPE_SE
	s_wait_dscnt 0x0
	s_barrier_signal -1
	s_barrier_wait -1
	global_inv scope:SCOPE_SE
	ds_load_u16 v11, v24
	ds_load_u16 v12, v24 offset:126
	ds_load_u16 v13, v24 offset:252
	;; [unrolled: 1-line block ×23, first 2 shown]
	global_wb scope:SCOPE_SE
	s_wait_dscnt 0x0
	s_barrier_signal -1
	s_barrier_wait -1
	global_inv scope:SCOPE_SE
	ds_store_b16 v76, v49
	ds_store_b16 v76, v52 offset:48
	ds_store_b16 v76, v69 offset:96
	ds_store_b16 v64, v51
	ds_store_b16 v64, v54 offset:48
	ds_store_b16 v64, v70 offset:96
	;; [unrolled: 3-line block ×6, first 2 shown]
	v_add_nc_u32_e32 v48, -9, v22
	v_mul_lo_u16 v49, v6, 57
	v_sub_f16_e32 v84, v84, v105
	v_mov_b32_e32 v6, 0
	v_fmamk_f16 v77, v75, 0x3aee, v47
	s_wait_alu 0xf1ff
	v_cndmask_b32_e64 v29, v48, v29, s0
	v_lshrrev_b16 v48, 12, v49
	v_fmac_f16_e32 v47, 0xbaee, v75
	v_fmamk_f16 v75, v84, 0x3aee, v46
	v_fmac_f16_e32 v46, 0xbaee, v84
	ds_store_b16 v45, v60
	ds_store_b16 v45, v77 offset:48
	ds_store_b16 v45, v47 offset:96
	ds_store_b16 v44, v61
	ds_store_b16 v44, v75 offset:48
	ds_store_b16 v44, v46 offset:96
	v_lshlrev_b64_e32 v[44:45], 2, v[5:6]
	v_lshlrev_b32_e32 v5, 1, v29
	v_mul_lo_u16 v29, 0x48, v48
	v_mul_lo_u16 v49, 0x48, v8
	;; [unrolled: 1-line block ×4, first 2 shown]
	v_lshlrev_b64_e32 v[46:47], 2, v[5:6]
	v_sub_nc_u16 v6, v0, v29
	v_sub_nc_u16 v49, v23, v49
	;; [unrolled: 1-line block ×3, first 2 shown]
	v_mul_lo_u16 v50, 0x48, v19
	v_add_co_u32 v44, s0, s4, v44
	v_and_b32_e32 v6, 0xff, v6
	v_and_b32_e32 v49, 0xff, v49
	;; [unrolled: 1-line block ×3, first 2 shown]
	v_sub_nc_u16 v25, v25, v50
	v_sub_nc_u16 v28, v26, v51
	s_wait_alu 0xf1ff
	v_add_co_ci_u32_e64 v45, s0, s5, v45, s0
	v_add_co_u32 v46, s0, s4, v46
	s_wait_alu 0xf1ff
	v_add_co_ci_u32_e64 v47, s0, s5, v47, s0
	v_lshlrev_b32_e32 v29, 3, v6
	v_lshlrev_b32_e32 v50, 3, v49
	;; [unrolled: 1-line block ×3, first 2 shown]
	v_and_b32_e32 v53, 0xffff, v25
	v_and_b32_e32 v54, 0xffff, v28
	global_wb scope:SCOPE_SE
	s_wait_dscnt 0x0
	s_barrier_signal -1
	s_barrier_wait -1
	global_inv scope:SCOPE_SE
	s_clause 0x4
	global_load_b64 v[25:26], v[44:45], off offset:280
	global_load_b64 v[27:28], v[46:47], off offset:280
	global_load_b64 v[73:74], v51, s[4:5] offset:280
	global_load_b64 v[44:45], v29, s[4:5] offset:280
	;; [unrolled: 1-line block ×3, first 2 shown]
	v_lshlrev_b32_e32 v29, 3, v53
	v_lshlrev_b32_e32 v46, 3, v54
	;; [unrolled: 1-line block ×3, first 2 shown]
	s_clause 0x2
	global_load_b64 v[85:86], v29, s[4:5] offset:280
	global_load_b64 v[87:88], v46, s[4:5] offset:280
	;; [unrolled: 1-line block ×3, first 2 shown]
	v_cmp_lt_u32_e64 s0, 8, v22
	v_and_b32_e32 v8, 0xffff, v8
	v_mul_u32_u24_e32 v18, 0x1b0, v18
	v_mul_u32_u24_e32 v47, 0x1b0, v19
	;; [unrolled: 1-line block ×3, first 2 shown]
	s_wait_alu 0xf1ff
	v_cndmask_b32_e64 v29, 0, 0x1b0, s0
	v_mul_u32_u24_e32 v8, 0x1b0, v8
	v_lshlrev_b32_e32 v46, 1, v49
	v_lshlrev_b32_e32 v49, 1, v52
	;; [unrolled: 1-line block ×3, first 2 shown]
	v_add3_u32 v5, 0, v29, v5
	v_and_b32_e32 v29, 0xffff, v48
	v_lshlrev_b32_e32 v51, 1, v54
	v_add3_u32 v46, 0, v8, v46
	v_cmp_gt_u32_e64 s0, 27, v22
	s_delay_alu instid0(VALU_DEP_4) | instskip(SKIP_3) | instid1(VALU_DEP_3)
	v_mul_u32_u24_e32 v19, 0x1b0, v29
	v_lshlrev_b32_e32 v29, 1, v6
	v_add3_u32 v17, 0, v17, v51
	v_lshl_add_u32 v6, v15, 1, 0
	v_add3_u32 v48, 0, v19, v29
	v_add3_u32 v19, 0, v18, v49
	;; [unrolled: 1-line block ×3, first 2 shown]
	ds_load_u16 v54, v24
	ds_load_u16 v53, v24 offset:126
	ds_load_u16 v52, v24 offset:252
	;; [unrolled: 1-line block ×23, first 2 shown]
	global_wb scope:SCOPE_SE
	s_wait_loadcnt_dscnt 0x0
	s_barrier_signal -1
	s_barrier_wait -1
	global_inv scope:SCOPE_SE
	v_lshrrev_b32_e32 v15, 16, v25
	v_lshrrev_b32_e32 v55, 16, v26
	;; [unrolled: 1-line block ×16, first 2 shown]
	v_mul_f16_e32 v71, v29, v15
	v_mul_f16_e32 v72, v77, v55
	;; [unrolled: 1-line block ×24, first 2 shown]
	v_fmac_f16_e32 v71, v40, v25
	v_fmac_f16_e32 v72, v43, v26
	v_mul_f16_e32 v111, v32, v80
	v_mul_f16_e32 v112, v37, v81
	;; [unrolled: 1-line block ×6, first 2 shown]
	v_fmac_f16_e32 v69, v38, v27
	v_fmac_f16_e32 v70, v42, v28
	;; [unrolled: 1-line block ×12, first 2 shown]
	v_mul_f16_e32 v101, v9, v101
	v_mul_f16_e32 v102, v31, v102
	v_fmac_f16_e32 v55, v9, v89
	v_fmac_f16_e32 v57, v31, v90
	v_fma_f16 v84, v29, v25, -v103
	v_fma_f16 v81, v77, v26, -v104
	v_add_f16_e32 v10, v71, v72
	v_fma_f16 v83, v68, v27, -v105
	v_fma_f16 v82, v78, v28, -v106
	;; [unrolled: 1-line block ×12, first 2 shown]
	v_add_f16_e32 v27, v69, v70
	v_add_f16_e32 v30, v62, v63
	;; [unrolled: 1-line block ×6, first 2 shown]
	v_fma_f16 v68, v94, v89, -v101
	v_fma_f16 v66, v99, v90, -v102
	v_add_f16_e32 v9, v11, v71
	v_add_f16_e32 v85, v55, v57
	v_sub_f16_e32 v25, v84, v81
	v_add_f16_e32 v35, v16, v58
	v_fmac_f16_e32 v11, -0.5, v10
	v_add_f16_e32 v26, v12, v69
	v_sub_f16_e32 v28, v83, v82
	v_add_f16_e32 v29, v13, v62
	v_sub_f16_e32 v31, v80, v78
	;; [unrolled: 2-line block ×3, first 2 shown]
	v_sub_f16_e32 v38, v76, v74
	v_add_f16_e32 v39, v20, v59
	v_sub_f16_e32 v41, v75, v73
	v_add_f16_e32 v42, v21, v15
	v_sub_f16_e32 v44, v67, v36
	v_fmac_f16_e32 v12, -0.5, v27
	v_fmac_f16_e32 v13, -0.5, v30
	;; [unrolled: 1-line block ×6, first 2 shown]
	v_add_f16_e32 v45, v7, v55
	v_sub_f16_e32 v86, v68, v66
	v_add_f16_e32 v87, v9, v72
	v_fmac_f16_e32 v7, -0.5, v85
	v_add_f16_e32 v30, v35, v61
	v_fmamk_f16 v35, v25, 0xbaee, v11
	v_fmac_f16_e32 v11, 0x3aee, v25
	v_add_f16_e32 v26, v26, v70
	v_add_f16_e32 v27, v29, v63
	;; [unrolled: 1-line block ×5, first 2 shown]
	v_fmamk_f16 v25, v28, 0xbaee, v12
	v_fmac_f16_e32 v12, 0x3aee, v28
	v_fmamk_f16 v28, v31, 0xbaee, v13
	v_fmac_f16_e32 v13, 0x3aee, v31
	;; [unrolled: 2-line block ×4, first 2 shown]
	v_fmamk_f16 v37, v41, 0xbaee, v20
	v_fmamk_f16 v38, v44, 0xbaee, v21
	v_fmac_f16_e32 v21, 0x3aee, v44
	v_add_f16_e32 v9, v45, v57
	v_fmac_f16_e32 v20, 0x3aee, v41
	v_fmamk_f16 v10, v86, 0xbaee, v7
	v_fmac_f16_e32 v7, 0x3aee, v86
	ds_store_b16 v24, v87
	ds_store_b16 v24, v35 offset:144
	ds_store_b16 v24, v11 offset:288
	ds_store_b16 v5, v26
	ds_store_b16 v5, v25 offset:144
	ds_store_b16 v5, v12 offset:288
	;; [unrolled: 3-line block ×7, first 2 shown]
	ds_store_b16 v6, v9 offset:2592
	ds_store_b16 v6, v10 offset:2736
	;; [unrolled: 1-line block ×3, first 2 shown]
	global_wb scope:SCOPE_SE
	s_wait_dscnt 0x0
	s_barrier_signal -1
	s_barrier_wait -1
	global_inv scope:SCOPE_SE
	ds_load_u16 v25, v24
	ds_load_u16 v21, v24 offset:126
	ds_load_u16 v27, v24 offset:2286
	;; [unrolled: 1-line block ×20, first 2 shown]
                                        ; implicit-def: $vgpr12
                                        ; implicit-def: $vgpr13
                                        ; implicit-def: $vgpr11
                                        ; implicit-def: $vgpr14
	s_and_saveexec_b32 s1, s0
	s_cbranch_execz .LBB0_15
; %bb.14:
	ds_load_u16 v9, v24 offset:378
	ds_load_u16 v10, v24 offset:810
	;; [unrolled: 1-line block ×7, first 2 shown]
.LBB0_15:
	s_wait_alu 0xfffe
	s_or_b32 exec_lo, exec_lo, s1
	v_add_f16_e32 v16, v84, v81
	v_sub_f16_e32 v71, v71, v72
	v_add_f16_e32 v72, v83, v82
	v_add_f16_e32 v20, v54, v84
	v_sub_f16_e32 v69, v69, v70
	v_fmac_f16_e32 v54, -0.5, v16
	v_add_f16_e32 v16, v53, v83
	v_fmac_f16_e32 v53, -0.5, v72
	v_sub_f16_e32 v64, v64, v65
	v_sub_f16_e32 v59, v59, v60
	v_fmamk_f16 v70, v71, 0x3aee, v54
	v_fmac_f16_e32 v54, 0xbaee, v71
	v_add_f16_e32 v71, v16, v82
	v_add_f16_e32 v16, v80, v78
	v_fmamk_f16 v72, v69, 0x3aee, v53
	v_fmac_f16_e32 v53, 0xbaee, v69
	v_add_f16_e32 v69, v79, v77
	v_add_f16_e32 v80, v52, v80
	v_fmac_f16_e32 v52, -0.5, v16
	v_sub_f16_e32 v16, v62, v63
	v_add_f16_e32 v63, v51, v79
	v_fmac_f16_e32 v51, -0.5, v69
	v_sub_f16_e32 v15, v15, v56
	v_add_f16_e32 v20, v20, v81
	v_fmamk_f16 v65, v16, 0x3aee, v52
	v_fmac_f16_e32 v52, 0xbaee, v16
	v_add_f16_e32 v16, v76, v74
	v_fmamk_f16 v69, v64, 0x3aee, v51
	v_fmac_f16_e32 v51, 0xbaee, v64
	v_add_f16_e32 v64, v75, v73
	v_add_f16_e32 v76, v50, v76
	v_fmac_f16_e32 v50, -0.5, v16
	v_sub_f16_e32 v16, v58, v61
	v_add_f16_e32 v61, v49, v75
	v_fmac_f16_e32 v49, -0.5, v64
	v_sub_f16_e32 v55, v55, v57
	v_add_f16_e32 v62, v80, v78
	v_fmamk_f16 v60, v16, 0x3aee, v50
	v_fmac_f16_e32 v50, 0xbaee, v16
	v_add_f16_e32 v16, v67, v36
	v_fmamk_f16 v64, v59, 0x3aee, v49
	v_fmac_f16_e32 v49, 0xbaee, v59
	v_add_f16_e32 v59, v68, v66
	v_add_f16_e32 v67, v47, v67
	v_fmac_f16_e32 v47, -0.5, v16
	v_add_f16_e32 v16, v8, v68
	v_add_f16_e32 v63, v63, v77
	v_fmac_f16_e32 v8, -0.5, v59
	v_add_f16_e32 v58, v76, v74
	v_add_f16_e32 v61, v61, v73
	;; [unrolled: 1-line block ×3, first 2 shown]
	v_fmamk_f16 v56, v15, 0x3aee, v47
	v_fmac_f16_e32 v47, 0xbaee, v15
	v_add_f16_e32 v15, v16, v66
	v_fmamk_f16 v16, v55, 0x3aee, v8
	v_fmac_f16_e32 v8, 0xbaee, v55
	global_wb scope:SCOPE_SE
	s_wait_dscnt 0x0
	s_barrier_signal -1
	s_barrier_wait -1
	global_inv scope:SCOPE_SE
	ds_store_b16 v24, v20
	ds_store_b16 v24, v70 offset:144
	ds_store_b16 v24, v54 offset:288
	ds_store_b16 v5, v71
	ds_store_b16 v5, v72 offset:144
	ds_store_b16 v5, v53 offset:288
	;; [unrolled: 3-line block ×7, first 2 shown]
	ds_store_b16 v6, v15 offset:2592
	ds_store_b16 v6, v16 offset:2736
	;; [unrolled: 1-line block ×3, first 2 shown]
	global_wb scope:SCOPE_SE
	s_wait_dscnt 0x0
	s_barrier_signal -1
	s_barrier_wait -1
	global_inv scope:SCOPE_SE
	ds_load_u16 v46, v24
	ds_load_u16 v36, v24 offset:126
	ds_load_u16 v49, v24 offset:558
	;; [unrolled: 1-line block ×20, first 2 shown]
                                        ; implicit-def: $vgpr17
                                        ; implicit-def: $vgpr19
                                        ; implicit-def: $vgpr18
                                        ; implicit-def: $vgpr20
	s_and_saveexec_b32 s1, s0
	s_cbranch_execz .LBB0_17
; %bb.16:
	ds_load_u16 v15, v24 offset:378
	ds_load_u16 v16, v24 offset:810
	;; [unrolled: 1-line block ×7, first 2 shown]
.LBB0_17:
	s_wait_alu 0xfffe
	s_or_b32 exec_lo, exec_lo, s1
	s_and_saveexec_b32 s1, vcc_lo
	s_cbranch_execz .LBB0_20
; %bb.18:
	v_mul_u32_u24_e32 v5, 6, v0
	v_mul_u32_u24_e32 v6, 6, v22
	v_mul_lo_u32 v84, s2, v4
	s_delay_alu instid0(VALU_DEP_3) | instskip(NEXT) | instid1(VALU_DEP_3)
	v_lshlrev_b32_e32 v5, 2, v5
	v_lshlrev_b32_e32 v6, 2, v6
	s_clause 0x3
	global_load_b128 v[66:69], v5, s[4:5] offset:856
	global_load_b64 v[78:79], v5, s[4:5] offset:872
	global_load_b128 v[70:73], v6, s[4:5] offset:856
	global_load_b64 v[80:81], v6, s[4:5] offset:872
	v_mov_b32_e32 v6, 0
	v_mad_u32_u24 v5, v0, 6, 0xfffffe86
	v_add_nc_u32_e32 v24, 63, v22
	v_mul_lo_u32 v0, s3, v3
	v_mad_co_u64_u32 v[3:4], null, s2, v3, 0
	s_delay_alu instid0(VALU_DEP_4) | instskip(SKIP_2) | instid1(VALU_DEP_3)
	v_lshlrev_b64_e32 v[74:75], 2, v[5:6]
	v_lshrrev_b32_e32 v5, 3, v22
	v_lshrrev_b32_e32 v85, 3, v24
	v_add_co_u32 v82, vcc_lo, s4, v74
	s_wait_alu 0xfffd
	s_delay_alu instid0(VALU_DEP_4)
	v_add_co_ci_u32_e32 v83, vcc_lo, s5, v75, vcc_lo
	s_clause 0x1
	global_load_b128 v[74:77], v[82:83], off offset:856
	global_load_b64 v[82:83], v[82:83], off offset:872
	v_mul_hi_u32 v5, 0x97b425f, v5
	v_mul_hi_u32 v85, 0x97b425f, v85
	v_add3_u32 v4, v4, v84, v0
	v_lshlrev_b64_e32 v[0:1], 2, v[1:2]
	s_delay_alu instid0(VALU_DEP_2) | instskip(SKIP_2) | instid1(VALU_DEP_3)
	v_lshlrev_b64_e32 v[3:4], 2, v[3:4]
	v_mul_lo_u32 v5, 0xd8, v5
	v_mul_lo_u32 v84, 0xd8, v85
	v_add_co_u32 v3, vcc_lo, s10, v3
	s_delay_alu instid0(VALU_DEP_3) | instskip(SKIP_2) | instid1(VALU_DEP_4)
	v_sub_nc_u32_e32 v2, v22, v5
	s_wait_alu 0xfffd
	v_add_co_ci_u32_e32 v5, vcc_lo, s11, v4, vcc_lo
	v_sub_nc_u32_e32 v4, v24, v84
	s_delay_alu instid0(VALU_DEP_3) | instskip(SKIP_4) | instid1(VALU_DEP_3)
	v_lshlrev_b32_e32 v86, 2, v2
	v_add_co_u32 v2, vcc_lo, v3, v0
	s_wait_alu 0xfffd
	v_add_co_ci_u32_e32 v3, vcc_lo, v5, v1, vcc_lo
	v_mad_co_u64_u32 v[0:1], null, 0x5e8, v85, v[4:5]
	v_add_co_u32 v84, vcc_lo, v2, v86
	v_mov_b32_e32 v1, v6
	s_wait_alu 0xfffd
	v_add_co_ci_u32_e32 v85, vcc_lo, 0, v3, vcc_lo
	s_wait_loadcnt 0x4
	v_lshrrev_b32_e32 v87, 16, v78
	v_lshrrev_b32_e32 v4, 16, v66
	;; [unrolled: 1-line block ×6, first 2 shown]
	s_wait_loadcnt 0x3
	v_lshrrev_b32_e32 v89, 16, v70
	v_lshrrev_b32_e32 v90, 16, v71
	;; [unrolled: 1-line block ×4, first 2 shown]
	s_wait_loadcnt 0x2
	v_lshrrev_b32_e32 v93, 16, v80
	v_lshrrev_b32_e32 v94, 16, v81
	s_wait_dscnt 0xc
	v_mul_f16_e32 v95, v60, v4
	s_wait_dscnt 0x2
	v_mul_f16_e32 v96, v64, v88
	v_mul_f16_e32 v97, v61, v86
	;; [unrolled: 1-line block ×6, first 2 shown]
	s_wait_dscnt 0x0
	v_mul_f16_e32 v100, v65, v87
	v_mul_f16_e32 v88, v43, v88
	;; [unrolled: 1-line block ×17, first 2 shown]
	s_wait_loadcnt 0x1
	v_lshrrev_b32_e32 v107, 16, v74
	v_lshrrev_b32_e32 v108, 16, v75
	;; [unrolled: 1-line block ×4, first 2 shown]
	s_wait_loadcnt 0x0
	v_lshrrev_b32_e32 v111, 16, v82
	v_lshrrev_b32_e32 v112, 16, v83
	v_fmac_f16_e32 v95, v39, v66
	v_fmac_f16_e32 v97, v41, v69
	;; [unrolled: 1-line block ×4, first 2 shown]
	v_fma_f16 v4, v60, v66, -v4
	v_fma_f16 v24, v63, v68, -v24
	;; [unrolled: 1-line block ×4, first 2 shown]
	v_fmac_f16_e32 v96, v43, v79
	v_fmac_f16_e32 v100, v45, v78
	v_fma_f16 v41, v64, v79, -v88
	v_fma_f16 v42, v65, v78, -v87
	v_fmac_f16_e32 v101, v35, v70
	v_fmac_f16_e32 v102, v40, v81
	;; [unrolled: 1-line block ×6, first 2 shown]
	v_fma_f16 v33, v59, v81, -v94
	v_fma_f16 v34, v56, v70, -v89
	;; [unrolled: 1-line block ×6, first 2 shown]
	v_mul_f16_e32 v43, v49, v107
	v_mul_f16_e32 v44, v53, v112
	;; [unrolled: 1-line block ×12, first 2 shown]
	v_sub_f16_e32 v63, v95, v96
	v_sub_f16_e32 v64, v97, v98
	;; [unrolled: 1-line block ×3, first 2 shown]
	v_add_f16_e32 v66, v4, v41
	v_add_f16_e32 v67, v39, v24
	;; [unrolled: 1-line block ×6, first 2 shown]
	v_sub_f16_e32 v4, v4, v41
	v_sub_f16_e32 v24, v39, v24
	;; [unrolled: 1-line block ×5, first 2 shown]
	v_add_f16_e32 v72, v34, v33
	v_add_f16_e32 v73, v37, v35
	;; [unrolled: 1-line block ×6, first 2 shown]
	v_sub_f16_e32 v33, v34, v33
	v_sub_f16_e32 v34, v37, v35
	;; [unrolled: 1-line block ×3, first 2 shown]
	v_fmac_f16_e32 v43, v29, v74
	v_fmac_f16_e32 v44, v32, v83
	;; [unrolled: 1-line block ×6, first 2 shown]
	v_fma_f16 v27, v53, v83, -v57
	v_fma_f16 v28, v49, v74, -v58
	;; [unrolled: 1-line block ×4, first 2 shown]
	v_sub_f16_e32 v39, v101, v102
	v_fma_f16 v29, v50, v76, -v59
	v_fma_f16 v30, v51, v77, -v60
	v_sub_f16_e32 v37, v63, v64
	v_sub_f16_e32 v38, v64, v65
	v_add_f16_e32 v40, v64, v65
	v_sub_f16_e32 v48, v66, v67
	v_sub_f16_e32 v49, v67, v68
	v_add_f16_e32 v50, v66, v68
	;; [unrolled: 3-line block ×4, first 2 shown]
	v_sub_f16_e32 v59, v65, v63
	v_sub_f16_e32 v60, v68, v66
	;; [unrolled: 1-line block ×7, first 2 shown]
	v_add_f16_e32 v68, v72, v78
	v_sub_f16_e32 v69, v79, v80
	v_sub_f16_e32 v71, v80, v81
	v_add_f16_e32 v74, v79, v81
	v_sub_f16_e32 v76, v34, v35
	v_sub_f16_e32 v72, v78, v72
	;; [unrolled: 1-line block ×6, first 2 shown]
	v_add_f16_e32 v82, v28, v27
	v_add_f16_e32 v86, v32, v31
	v_sub_f16_e32 v62, v39, v41
	v_add_f16_e32 v41, v41, v42
	v_sub_f16_e32 v75, v33, v34
	;; [unrolled: 2-line block ×3, first 2 shown]
	v_sub_f16_e32 v35, v35, v33
	v_add_f16_e32 v83, v30, v29
	v_add_f16_e32 v43, v43, v44
	;; [unrolled: 1-line block ×4, first 2 shown]
	v_sub_f16_e32 v27, v28, v27
	v_sub_f16_e32 v28, v30, v29
	;; [unrolled: 1-line block ×3, first 2 shown]
	v_mul_f16_e32 v30, 0x3846, v38
	v_add_f16_e32 v31, v63, v40
	v_mul_f16_e32 v38, 0x2b26, v49
	v_add_f16_e32 v40, v67, v50
	v_mul_f16_e32 v49, 0x3a52, v51
	v_mul_f16_e32 v50, 0x2b26, v52
	v_add_f16_e32 v52, v70, v53
	v_mul_f16_e32 v53, 0x3846, v58
	v_add_f16_e32 v4, v4, v24
	v_mul_f16_e32 v24, 0xbb00, v59
	v_mul_f16_e32 v54, 0xbb00, v5
	;; [unrolled: 1-line block ×4, first 2 shown]
	v_add_f16_e32 v58, v73, v68
	v_mul_f16_e32 v64, 0x2b26, v71
	v_add_f16_e32 v66, v80, v74
	v_mul_f16_e32 v67, 0x3846, v76
	v_sub_f16_e32 v70, v78, v79
	v_sub_f16_e32 v71, v79, v81
	v_add_f16_e32 v73, v79, v81
	v_add_f16_e32 v79, v82, v86
	v_mul_f16_e32 v32, 0x3a52, v48
	v_add_f16_e32 v39, v39, v41
	v_mul_f16_e32 v41, 0x3a52, v65
	v_mul_f16_e32 v63, 0x3a52, v69
	v_add_f16_e32 v33, v33, v34
	v_mul_f16_e32 v34, 0xbb00, v42
	v_mul_f16_e32 v68, 0xbb00, v35
	v_sub_f16_e32 v74, v82, v83
	v_sub_f16_e32 v76, v83, v86
	;; [unrolled: 1-line block ×4, first 2 shown]
	v_add_f16_e32 v88, v43, v45
	v_sub_f16_e32 v89, v27, v28
	v_sub_f16_e32 v90, v28, v29
	v_add_f16_e32 v28, v28, v29
	v_sub_f16_e32 v81, v81, v78
	v_sub_f16_e32 v82, v86, v82
	;; [unrolled: 1-line block ×4, first 2 shown]
	v_fmamk_f16 v45, v37, 0xb574, v30
	v_add_f16_e32 v47, v47, v40
	v_add_f16_e32 v86, v26, v52
	v_fmamk_f16 v26, v57, 0xb574, v53
	v_fma_f16 v24, v37, 0x3574, -v24
	v_fma_f16 v37, v61, 0xb9e0, -v49
	;; [unrolled: 1-line block ×5, first 2 shown]
	v_add_f16_e32 v46, v46, v58
	v_add_f16_e32 v25, v25, v66
	v_fmamk_f16 v59, v75, 0xb574, v67
	v_fma_f16 v35, v35, 0xbb00, -v67
	v_add_f16_e32 v67, v83, v79
	v_fmamk_f16 v48, v48, 0x3a52, v38
	v_fmamk_f16 v51, v51, 0x3a52, v50
	v_fma_f16 v32, v60, 0xb9e0, -v32
	v_fma_f16 v38, v60, 0x39e0, -v38
	v_fma_f16 v50, v61, 0x39e0, -v50
	v_fmamk_f16 v53, v62, 0xb574, v55
	v_fmamk_f16 v54, v65, 0x3a52, v56
	;; [unrolled: 1-line block ×3, first 2 shown]
	v_fma_f16 v34, v62, 0x3574, -v34
	v_fma_f16 v41, v72, 0xb9e0, -v41
	;; [unrolled: 1-line block ×7, first 2 shown]
	v_mul_f16_e32 v62, 0x3846, v71
	v_mul_f16_e32 v65, 0x2b26, v76
	;; [unrolled: 1-line block ×4, first 2 shown]
	v_add_f16_e32 v27, v27, v28
	v_mul_f16_e32 v28, 0xbb00, v81
	v_mul_f16_e32 v72, 0xbb00, v29
	v_fmac_f16_e32 v45, 0xb70e, v31
	v_fmamk_f16 v40, v40, 0xbcab, v47
	v_fmamk_f16 v52, v52, 0xbcab, v86
	v_fmac_f16_e32 v26, 0xb70e, v4
	v_fmac_f16_e32 v24, 0xb70e, v31
	;; [unrolled: 1-line block ×5, first 2 shown]
	v_fmamk_f16 v4, v58, 0xbcab, v46
	v_fmamk_f16 v31, v66, 0xbcab, v25
	v_add_f16_e32 v36, v36, v67
	v_add_f16_e32 v63, v78, v73
	v_mul_f16_e32 v69, 0x2b26, v87
	v_fmac_f16_e32 v53, 0xb70e, v39
	v_fmac_f16_e32 v59, 0xb70e, v33
	;; [unrolled: 1-line block ×6, first 2 shown]
	v_pack_b32_f16 v33, v25, v46
	v_fmamk_f16 v25, v70, 0xb574, v62
	v_fmamk_f16 v39, v74, 0x3a52, v65
	;; [unrolled: 1-line block ×3, first 2 shown]
	v_fma_f16 v28, v70, 0x3574, -v28
	v_fma_f16 v66, v43, 0xb9e0, -v68
	;; [unrolled: 1-line block ×5, first 2 shown]
	v_add_f16_e32 v48, v48, v40
	v_add_f16_e32 v51, v51, v52
	v_add_f16_e32 v32, v32, v40
	v_add_f16_e32 v37, v37, v52
	v_add_f16_e32 v38, v38, v40
	v_add_f16_e32 v40, v50, v52
	v_add_f16_e32 v50, v54, v4
	v_add_f16_e32 v52, v57, v31
	v_add_f16_e32 v41, v41, v4
	v_add_f16_e32 v54, v60, v31
	v_add_f16_e32 v4, v56, v4
	v_add_f16_e32 v31, v55, v31
	v_fmamk_f16 v55, v67, 0xbcab, v36
	v_add_f16_e32 v44, v44, v88
	v_fmamk_f16 v46, v80, 0x3a52, v69
	v_fma_f16 v43, v43, 0x39e0, -v69
	v_fmac_f16_e32 v25, 0xb70e, v63
	v_fmac_f16_e32 v58, 0xb70e, v27
	;; [unrolled: 1-line block ×6, first 2 shown]
	v_add_f16_e32 v56, v45, v48
	v_sub_f16_e32 v57, v51, v26
	v_add_f16_e32 v60, v24, v32
	v_sub_f16_e32 v63, v37, v49
	v_sub_f16_e32 v67, v38, v30
	v_add_f16_e32 v69, v5, v40
	v_add_f16_e32 v70, v30, v38
	v_sub_f16_e32 v40, v40, v5
	v_sub_f16_e32 v71, v32, v24
	v_add_f16_e32 v49, v49, v37
	v_sub_f16_e32 v45, v48, v45
	v_add_f16_e32 v48, v26, v51
	v_add_f16_e32 v5, v53, v50
	v_sub_f16_e32 v24, v52, v59
	v_add_f16_e32 v26, v34, v41
	v_sub_f16_e32 v27, v54, v61
	v_sub_f16_e32 v30, v4, v42
	v_add_f16_e32 v32, v35, v31
	v_add_f16_e32 v4, v42, v4
	v_sub_f16_e32 v31, v31, v35
	v_sub_f16_e32 v37, v50, v53
	v_add_f16_e32 v38, v59, v52
	v_add_f16_e32 v39, v39, v55
	v_mul_f16_e32 v64, 0x3a52, v74
	v_add_f16_e32 v21, v21, v44
	v_sub_f16_e32 v34, v41, v34
	v_add_f16_e32 v35, v61, v54
	v_pack_b32_f16 v37, v38, v37
	v_pack_b32_f16 v4, v31, v4
	v_add_f16_e32 v38, v25, v39
	v_sub_f16_e32 v31, v39, v25
	v_pack_b32_f16 v26, v27, v26
	v_pack_b32_f16 v27, v24, v5
	v_lshlrev_b64_e32 v[24:25], 2, v[0:1]
	v_add_nc_u32_e32 v1, 0x7e, v22
	v_fma_f16 v64, v82, 0xb9e0, -v64
	v_fmamk_f16 v44, v44, 0xbcab, v21
	v_add_nc_u32_e32 v5, 0xd8, v0
	v_pack_b32_f16 v34, v35, v34
	v_pack_b32_f16 v30, v32, v30
	s_clause 0x6
	global_store_b32 v[84:85], v33, off
	global_store_b32 v[84:85], v37, off offset:864
	global_store_b32 v[84:85], v34, off offset:1728
	;; [unrolled: 1-line block ×6, first 2 shown]
	v_lshrrev_b32_e32 v4, 3, v1
	v_add_f16_e32 v41, v46, v44
	v_add_f16_e32 v42, v64, v55
	;; [unrolled: 1-line block ×3, first 2 shown]
	v_lshlrev_b64_e32 v[26:27], 2, v[5:6]
	v_add_nc_u32_e32 v5, 0x1b0, v0
	v_pack_b32_f16 v21, v21, v36
	v_mul_hi_u32 v36, 0x97b425f, v4
	v_fma_f16 v65, v82, 0x39e0, -v65
	v_add_f16_e32 v46, v66, v44
	v_add_f16_e32 v51, v28, v42
	;; [unrolled: 1-line block ×3, first 2 shown]
	v_sub_f16_e32 v43, v43, v29
	v_sub_f16_e32 v32, v42, v28
	v_add_f16_e32 v39, v58, v41
	v_lshlrev_b64_e32 v[28:29], 2, v[5:6]
	v_add_nc_u32_e32 v5, 0x288, v0
	v_add_f16_e32 v50, v65, v55
	v_sub_f16_e32 v44, v41, v58
	v_add_f16_e32 v42, v68, v46
	v_pack_b32_f16 v41, v39, v31
	v_lshlrev_b64_e32 v[30:31], 2, v[5:6]
	v_add_nc_u32_e32 v5, 0x360, v0
	v_mul_lo_u32 v4, 0xd8, v36
	v_add_co_u32 v24, vcc_lo, v2, v24
	v_add_f16_e32 v35, v62, v50
	s_wait_alu 0xfffd
	v_add_co_ci_u32_e32 v25, vcc_lo, v3, v25, vcc_lo
	v_pack_b32_f16 v42, v42, v32
	v_lshlrev_b64_e32 v[32:33], 2, v[5:6]
	v_add_nc_u32_e32 v5, 0x438, v0
	v_add_co_u32 v26, vcc_lo, v2, v26
	s_wait_alu 0xfffd
	v_add_co_ci_u32_e32 v27, vcc_lo, v3, v27, vcc_lo
	v_add_co_u32 v28, vcc_lo, v2, v28
	v_pack_b32_f16 v43, v43, v35
	v_lshlrev_b64_e32 v[34:35], 2, v[5:6]
	v_add_nc_u32_e32 v5, 0x510, v0
	v_sub_nc_u32_e32 v0, v1, v4
	s_wait_alu 0xfffd
	v_add_co_ci_u32_e32 v29, vcc_lo, v3, v29, vcc_lo
	v_add_co_u32 v30, vcc_lo, v2, v30
	s_wait_alu 0xfffd
	v_add_co_ci_u32_e32 v31, vcc_lo, v3, v31, vcc_lo
	v_add_co_u32 v32, vcc_lo, v2, v32
	v_lshlrev_b64_e32 v[4:5], 2, v[5:6]
	v_mad_co_u64_u32 v[0:1], null, 0x5e8, v36, v[0:1]
	v_mov_b32_e32 v1, v6
	s_wait_alu 0xfffd
	v_add_co_ci_u32_e32 v33, vcc_lo, v3, v33, vcc_lo
	v_add_co_u32 v34, vcc_lo, v2, v34
	s_wait_alu 0xfffd
	v_add_co_ci_u32_e32 v35, vcc_lo, v3, v35, vcc_lo
	v_add_co_u32 v36, vcc_lo, v2, v4
	v_sub_f16_e32 v53, v50, v62
	v_sub_f16_e32 v52, v46, v68
	s_wait_alu 0xfffd
	v_add_co_ci_u32_e32 v37, vcc_lo, v3, v5, vcc_lo
	v_add_nc_u32_e32 v5, 0xd8, v0
	v_pack_b32_f16 v46, v54, v53
	v_pack_b32_f16 v50, v52, v51
	;; [unrolled: 1-line block ×3, first 2 shown]
	s_clause 0x6
	global_store_b32 v[24:25], v21, off
	global_store_b32 v[26:27], v41, off
	global_store_b32 v[28:29], v42, off
	global_store_b32 v[30:31], v43, off
	global_store_b32 v[32:33], v46, off
	global_store_b32 v[34:35], v50, off
	global_store_b32 v[36:37], v4, off
	v_lshlrev_b64_e32 v[24:25], 2, v[5:6]
	v_add_nc_u32_e32 v5, 0x1b0, v0
	v_lshlrev_b64_e32 v[38:39], 2, v[0:1]
	v_pack_b32_f16 v1, v86, v47
	v_pack_b32_f16 v21, v48, v45
	;; [unrolled: 1-line block ×3, first 2 shown]
	v_lshlrev_b64_e32 v[28:29], 2, v[5:6]
	v_add_nc_u32_e32 v5, 0x288, v0
	v_add_co_u32 v26, vcc_lo, v2, v38
	s_wait_alu 0xfffd
	v_add_co_ci_u32_e32 v27, vcc_lo, v3, v39, vcc_lo
	s_delay_alu instid0(VALU_DEP_3) | instskip(SKIP_4) | instid1(VALU_DEP_3)
	v_lshlrev_b64_e32 v[30:31], 2, v[5:6]
	v_add_nc_u32_e32 v5, 0x360, v0
	v_add_co_u32 v24, vcc_lo, v2, v24
	s_wait_alu 0xfffd
	v_add_co_ci_u32_e32 v25, vcc_lo, v3, v25, vcc_lo
	v_lshlrev_b64_e32 v[32:33], 2, v[5:6]
	v_add_nc_u32_e32 v5, 0x438, v0
	v_add_co_u32 v28, vcc_lo, v2, v28
	s_wait_alu 0xfffd
	v_add_co_ci_u32_e32 v29, vcc_lo, v3, v29, vcc_lo
	s_delay_alu instid0(VALU_DEP_3)
	v_lshlrev_b64_e32 v[34:35], 2, v[5:6]
	v_add_nc_u32_e32 v5, 0x510, v0
	v_add_co_u32 v30, vcc_lo, v2, v30
	s_wait_alu 0xfffd
	v_add_co_ci_u32_e32 v31, vcc_lo, v3, v31, vcc_lo
	v_add_co_u32 v32, vcc_lo, v2, v32
	v_lshlrev_b64_e32 v[4:5], 2, v[5:6]
	s_wait_alu 0xfffd
	v_add_co_ci_u32_e32 v33, vcc_lo, v3, v33, vcc_lo
	v_add_co_u32 v34, vcc_lo, v2, v34
	v_add_nc_u32_e32 v0, 0xbd, v22
	s_wait_alu 0xfffd
	v_add_co_ci_u32_e32 v35, vcc_lo, v3, v35, vcc_lo
	v_add_co_u32 v4, vcc_lo, v2, v4
	s_wait_alu 0xfffd
	v_add_co_ci_u32_e32 v5, vcc_lo, v3, v5, vcc_lo
	v_cmp_gt_u32_e32 vcc_lo, 0xd8, v0
	v_pack_b32_f16 v37, v40, v70
	v_pack_b32_f16 v38, v69, v67
	;; [unrolled: 1-line block ×4, first 2 shown]
	s_clause 0x6
	global_store_b32 v[26:27], v1, off
	global_store_b32 v[24:25], v21, off
	;; [unrolled: 1-line block ×7, first 2 shown]
	s_and_b32 exec_lo, exec_lo, vcc_lo
	s_cbranch_execz .LBB0_20
; %bb.19:
	v_subrev_nc_u32_e32 v1, 27, v22
	s_delay_alu instid0(VALU_DEP_1) | instskip(NEXT) | instid1(VALU_DEP_1)
	v_cndmask_b32_e64 v1, v1, v23, s0
	v_mul_i32_i24_e32 v5, 6, v1
	v_mov_b32_e32 v1, v6
	s_delay_alu instid0(VALU_DEP_2) | instskip(NEXT) | instid1(VALU_DEP_2)
	v_lshlrev_b64_e32 v[4:5], 2, v[5:6]
	v_lshlrev_b64_e32 v[0:1], 2, v[0:1]
	s_delay_alu instid0(VALU_DEP_2) | instskip(SKIP_1) | instid1(VALU_DEP_3)
	v_add_co_u32 v4, vcc_lo, s4, v4
	s_wait_alu 0xfffd
	v_add_co_ci_u32_e32 v5, vcc_lo, s5, v5, vcc_lo
	s_delay_alu instid0(VALU_DEP_3)
	v_add_co_u32 v0, vcc_lo, v2, v0
	s_wait_alu 0xfffd
	v_add_co_ci_u32_e32 v1, vcc_lo, v3, v1, vcc_lo
	s_clause 0x1
	global_load_b128 v[23:26], v[4:5], off offset:856
	global_load_b64 v[27:28], v[4:5], off offset:872
	v_add_nc_u32_e32 v5, 0x195, v22
	s_delay_alu instid0(VALU_DEP_1) | instskip(SKIP_1) | instid1(VALU_DEP_1)
	v_lshlrev_b64_e32 v[29:30], 2, v[5:6]
	v_add_nc_u32_e32 v5, 0x26d, v22
	v_lshlrev_b64_e32 v[31:32], 2, v[5:6]
	v_add_nc_u32_e32 v5, 0x345, v22
	s_delay_alu instid0(VALU_DEP_4) | instskip(SKIP_2) | instid1(VALU_DEP_3)
	v_add_co_u32 v29, vcc_lo, v2, v29
	s_wait_alu 0xfffd
	v_add_co_ci_u32_e32 v30, vcc_lo, v3, v30, vcc_lo
	v_lshlrev_b64_e32 v[33:34], 2, v[5:6]
	v_add_nc_u32_e32 v5, 0x41d, v22
	v_add_co_u32 v31, vcc_lo, v2, v31
	s_wait_alu 0xfffd
	v_add_co_ci_u32_e32 v32, vcc_lo, v3, v32, vcc_lo
	s_delay_alu instid0(VALU_DEP_3) | instskip(SKIP_4) | instid1(VALU_DEP_3)
	v_lshlrev_b64_e32 v[35:36], 2, v[5:6]
	v_add_nc_u32_e32 v5, 0x4f5, v22
	v_add_co_u32 v33, vcc_lo, v2, v33
	s_wait_alu 0xfffd
	v_add_co_ci_u32_e32 v34, vcc_lo, v3, v34, vcc_lo
	v_lshlrev_b64_e32 v[37:38], 2, v[5:6]
	v_add_nc_u32_e32 v5, 0x5cd, v22
	v_add_co_u32 v21, vcc_lo, v2, v35
	s_wait_alu 0xfffd
	v_add_co_ci_u32_e32 v22, vcc_lo, v3, v36, vcc_lo
	s_delay_alu instid0(VALU_DEP_3) | instskip(SKIP_3) | instid1(VALU_DEP_3)
	v_lshlrev_b64_e32 v[4:5], 2, v[5:6]
	v_add_co_u32 v35, vcc_lo, v2, v37
	s_wait_alu 0xfffd
	v_add_co_ci_u32_e32 v36, vcc_lo, v3, v38, vcc_lo
	v_add_co_u32 v2, vcc_lo, v2, v4
	s_wait_alu 0xfffd
	v_add_co_ci_u32_e32 v3, vcc_lo, v3, v5, vcc_lo
	s_wait_loadcnt 0x1
	v_lshrrev_b32_e32 v4, 16, v23
	v_lshrrev_b32_e32 v5, 16, v24
	s_wait_loadcnt 0x0
	v_lshrrev_b32_e32 v38, 16, v27
	v_lshrrev_b32_e32 v39, 16, v28
	;; [unrolled: 1-line block ×4, first 2 shown]
	v_mul_f16_e32 v40, v16, v4
	v_mul_f16_e32 v4, v10, v4
	v_mul_f16_e32 v41, v8, v5
	v_mul_f16_e32 v5, v7, v5
	v_mul_f16_e32 v44, v18, v38
	v_mul_f16_e32 v38, v11, v38
	v_mul_f16_e32 v45, v19, v39
	v_mul_f16_e32 v39, v13, v39
	v_mul_f16_e32 v42, v20, v6
	v_mul_f16_e32 v6, v14, v6
	v_mul_f16_e32 v43, v17, v37
	v_mul_f16_e32 v37, v12, v37
	v_fmac_f16_e32 v40, v10, v23
	v_fma_f16 v4, v16, v23, -v4
	v_fmac_f16_e32 v41, v7, v24
	v_fma_f16 v5, v8, v24, -v5
	;; [unrolled: 2-line block ×6, first 2 shown]
	v_add_f16_e32 v11, v40, v45
	v_add_f16_e32 v12, v4, v7
	v_sub_f16_e32 v4, v4, v7
	v_add_f16_e32 v7, v41, v44
	v_add_f16_e32 v14, v5, v10
	v_sub_f16_e32 v16, v41, v44
	v_sub_f16_e32 v5, v5, v10
	v_add_f16_e32 v10, v42, v43
	v_add_f16_e32 v17, v6, v8
	v_sub_f16_e32 v18, v43, v42
	;; [unrolled: 4-line block ×3, first 2 shown]
	v_sub_f16_e32 v20, v7, v11
	v_sub_f16_e32 v23, v14, v12
	;; [unrolled: 1-line block ×6, first 2 shown]
	v_add_f16_e32 v24, v18, v16
	v_add_f16_e32 v25, v6, v5
	v_sub_f16_e32 v26, v18, v16
	v_sub_f16_e32 v27, v6, v5
	;; [unrolled: 1-line block ×3, first 2 shown]
	v_add_f16_e32 v8, v10, v8
	v_add_f16_e32 v10, v17, v19
	v_sub_f16_e32 v16, v16, v13
	v_sub_f16_e32 v18, v13, v18
	;; [unrolled: 1-line block ×3, first 2 shown]
	v_add_f16_e32 v13, v24, v13
	v_add_f16_e32 v4, v25, v4
	v_mul_f16_e32 v11, 0x3a52, v11
	v_mul_f16_e32 v12, 0x3a52, v12
	;; [unrolled: 1-line block ×7, first 2 shown]
	v_add_f16_e32 v9, v9, v8
	v_add_f16_e32 v15, v15, v10
	v_mul_f16_e32 v26, 0xbb00, v16
	v_fmamk_f16 v7, v7, 0x2b26, v11
	v_fmamk_f16 v14, v14, 0x2b26, v12
	v_fma_f16 v17, v20, 0x39e0, -v17
	v_fma_f16 v19, v23, 0x39e0, -v19
	;; [unrolled: 1-line block ×4, first 2 shown]
	v_fmamk_f16 v20, v18, 0xb574, v24
	v_fmamk_f16 v23, v6, 0xb574, v25
	v_fma_f16 v5, v5, 0xbb00, -v25
	v_fma_f16 v6, v6, 0x3574, -v27
	v_fmamk_f16 v8, v8, 0xbcab, v9
	v_fmamk_f16 v10, v10, 0xbcab, v15
	v_fma_f16 v16, v16, 0xbb00, -v24
	v_fma_f16 v18, v18, 0x3574, -v26
	v_fmac_f16_e32 v20, 0xb70e, v13
	v_fmac_f16_e32 v23, 0xb70e, v4
	;; [unrolled: 1-line block ×4, first 2 shown]
	v_pack_b32_f16 v4, v9, v15
	v_add_f16_e32 v7, v7, v8
	v_add_f16_e32 v9, v14, v10
	v_fmac_f16_e32 v16, 0xb70e, v13
	v_fmac_f16_e32 v18, 0xb70e, v13
	v_add_f16_e32 v13, v17, v8
	v_add_f16_e32 v8, v11, v8
	;; [unrolled: 1-line block ×5, first 2 shown]
	v_sub_f16_e32 v14, v9, v20
	v_add_f16_e32 v15, v6, v8
	v_sub_f16_e32 v17, v11, v18
	v_sub_f16_e32 v19, v13, v5
	v_add_f16_e32 v24, v16, v10
	v_add_f16_e32 v5, v5, v13
	v_sub_f16_e32 v10, v10, v16
	v_sub_f16_e32 v6, v8, v6
	v_add_f16_e32 v8, v18, v11
	v_sub_f16_e32 v7, v7, v23
	v_add_f16_e32 v9, v20, v9
	v_pack_b32_f16 v11, v12, v14
	v_pack_b32_f16 v12, v15, v17
	;; [unrolled: 1-line block ×6, first 2 shown]
	s_clause 0x6
	global_store_b32 v[0:1], v4, off
	global_store_b32 v[29:30], v11, off
	;; [unrolled: 1-line block ×7, first 2 shown]
.LBB0_20:
	s_nop 0
	s_sendmsg sendmsg(MSG_DEALLOC_VGPRS)
	s_endpgm
	.section	.rodata,"a",@progbits
	.p2align	6, 0x0
	.amdhsa_kernel fft_rtc_back_len1512_factors_2_2_2_3_3_3_7_wgs_63_tpt_63_halfLds_half_op_CI_CI_unitstride_sbrr_dirReg
		.amdhsa_group_segment_fixed_size 0
		.amdhsa_private_segment_fixed_size 0
		.amdhsa_kernarg_size 104
		.amdhsa_user_sgpr_count 2
		.amdhsa_user_sgpr_dispatch_ptr 0
		.amdhsa_user_sgpr_queue_ptr 0
		.amdhsa_user_sgpr_kernarg_segment_ptr 1
		.amdhsa_user_sgpr_dispatch_id 0
		.amdhsa_user_sgpr_private_segment_size 0
		.amdhsa_wavefront_size32 1
		.amdhsa_uses_dynamic_stack 0
		.amdhsa_enable_private_segment 0
		.amdhsa_system_sgpr_workgroup_id_x 1
		.amdhsa_system_sgpr_workgroup_id_y 0
		.amdhsa_system_sgpr_workgroup_id_z 0
		.amdhsa_system_sgpr_workgroup_info 0
		.amdhsa_system_vgpr_workitem_id 0
		.amdhsa_next_free_vgpr 119
		.amdhsa_next_free_sgpr 39
		.amdhsa_reserve_vcc 1
		.amdhsa_float_round_mode_32 0
		.amdhsa_float_round_mode_16_64 0
		.amdhsa_float_denorm_mode_32 3
		.amdhsa_float_denorm_mode_16_64 3
		.amdhsa_fp16_overflow 0
		.amdhsa_workgroup_processor_mode 1
		.amdhsa_memory_ordered 1
		.amdhsa_forward_progress 0
		.amdhsa_round_robin_scheduling 0
		.amdhsa_exception_fp_ieee_invalid_op 0
		.amdhsa_exception_fp_denorm_src 0
		.amdhsa_exception_fp_ieee_div_zero 0
		.amdhsa_exception_fp_ieee_overflow 0
		.amdhsa_exception_fp_ieee_underflow 0
		.amdhsa_exception_fp_ieee_inexact 0
		.amdhsa_exception_int_div_zero 0
	.end_amdhsa_kernel
	.text
.Lfunc_end0:
	.size	fft_rtc_back_len1512_factors_2_2_2_3_3_3_7_wgs_63_tpt_63_halfLds_half_op_CI_CI_unitstride_sbrr_dirReg, .Lfunc_end0-fft_rtc_back_len1512_factors_2_2_2_3_3_3_7_wgs_63_tpt_63_halfLds_half_op_CI_CI_unitstride_sbrr_dirReg
                                        ; -- End function
	.section	.AMDGPU.csdata,"",@progbits
; Kernel info:
; codeLenInByte = 18836
; NumSgprs: 41
; NumVgprs: 119
; ScratchSize: 0
; MemoryBound: 0
; FloatMode: 240
; IeeeMode: 1
; LDSByteSize: 0 bytes/workgroup (compile time only)
; SGPRBlocks: 5
; VGPRBlocks: 14
; NumSGPRsForWavesPerEU: 41
; NumVGPRsForWavesPerEU: 119
; Occupancy: 12
; WaveLimiterHint : 1
; COMPUTE_PGM_RSRC2:SCRATCH_EN: 0
; COMPUTE_PGM_RSRC2:USER_SGPR: 2
; COMPUTE_PGM_RSRC2:TRAP_HANDLER: 0
; COMPUTE_PGM_RSRC2:TGID_X_EN: 1
; COMPUTE_PGM_RSRC2:TGID_Y_EN: 0
; COMPUTE_PGM_RSRC2:TGID_Z_EN: 0
; COMPUTE_PGM_RSRC2:TIDIG_COMP_CNT: 0
	.text
	.p2alignl 7, 3214868480
	.fill 96, 4, 3214868480
	.type	__hip_cuid_b8724e42db95df8e,@object ; @__hip_cuid_b8724e42db95df8e
	.section	.bss,"aw",@nobits
	.globl	__hip_cuid_b8724e42db95df8e
__hip_cuid_b8724e42db95df8e:
	.byte	0                               ; 0x0
	.size	__hip_cuid_b8724e42db95df8e, 1

	.ident	"AMD clang version 19.0.0git (https://github.com/RadeonOpenCompute/llvm-project roc-6.4.0 25133 c7fe45cf4b819c5991fe208aaa96edf142730f1d)"
	.section	".note.GNU-stack","",@progbits
	.addrsig
	.addrsig_sym __hip_cuid_b8724e42db95df8e
	.amdgpu_metadata
---
amdhsa.kernels:
  - .args:
      - .actual_access:  read_only
        .address_space:  global
        .offset:         0
        .size:           8
        .value_kind:     global_buffer
      - .offset:         8
        .size:           8
        .value_kind:     by_value
      - .actual_access:  read_only
        .address_space:  global
        .offset:         16
        .size:           8
        .value_kind:     global_buffer
      - .actual_access:  read_only
        .address_space:  global
        .offset:         24
        .size:           8
        .value_kind:     global_buffer
      - .actual_access:  read_only
        .address_space:  global
        .offset:         32
        .size:           8
        .value_kind:     global_buffer
      - .offset:         40
        .size:           8
        .value_kind:     by_value
      - .actual_access:  read_only
        .address_space:  global
        .offset:         48
        .size:           8
        .value_kind:     global_buffer
      - .actual_access:  read_only
        .address_space:  global
        .offset:         56
        .size:           8
        .value_kind:     global_buffer
      - .offset:         64
        .size:           4
        .value_kind:     by_value
      - .actual_access:  read_only
        .address_space:  global
        .offset:         72
        .size:           8
        .value_kind:     global_buffer
      - .actual_access:  read_only
        .address_space:  global
        .offset:         80
        .size:           8
        .value_kind:     global_buffer
      - .actual_access:  read_only
        .address_space:  global
        .offset:         88
        .size:           8
        .value_kind:     global_buffer
      - .actual_access:  write_only
        .address_space:  global
        .offset:         96
        .size:           8
        .value_kind:     global_buffer
    .group_segment_fixed_size: 0
    .kernarg_segment_align: 8
    .kernarg_segment_size: 104
    .language:       OpenCL C
    .language_version:
      - 2
      - 0
    .max_flat_workgroup_size: 63
    .name:           fft_rtc_back_len1512_factors_2_2_2_3_3_3_7_wgs_63_tpt_63_halfLds_half_op_CI_CI_unitstride_sbrr_dirReg
    .private_segment_fixed_size: 0
    .sgpr_count:     41
    .sgpr_spill_count: 0
    .symbol:         fft_rtc_back_len1512_factors_2_2_2_3_3_3_7_wgs_63_tpt_63_halfLds_half_op_CI_CI_unitstride_sbrr_dirReg.kd
    .uniform_work_group_size: 1
    .uses_dynamic_stack: false
    .vgpr_count:     119
    .vgpr_spill_count: 0
    .wavefront_size: 32
    .workgroup_processor_mode: 1
amdhsa.target:   amdgcn-amd-amdhsa--gfx1201
amdhsa.version:
  - 1
  - 2
...

	.end_amdgpu_metadata
